;; amdgpu-corpus repo=ROCm/rocFFT kind=compiled arch=gfx1030 opt=O3
	.text
	.amdgcn_target "amdgcn-amd-amdhsa--gfx1030"
	.amdhsa_code_object_version 6
	.protected	bluestein_single_back_len2401_dim1_half_op_CI_CI ; -- Begin function bluestein_single_back_len2401_dim1_half_op_CI_CI
	.globl	bluestein_single_back_len2401_dim1_half_op_CI_CI
	.p2align	8
	.type	bluestein_single_back_len2401_dim1_half_op_CI_CI,@function
bluestein_single_back_len2401_dim1_half_op_CI_CI: ; @bluestein_single_back_len2401_dim1_half_op_CI_CI
; %bb.0:
	s_load_dwordx4 s[16:19], s[4:5], 0x28
	v_mul_u32_u24_e32 v1, 0x53a, v0
	s_mov_b64 s[22:23], s[2:3]
	s_mov_b64 s[20:21], s[0:1]
	v_mov_b32_e32 v3, 0
	s_add_u32 s20, s20, s7
	v_lshrrev_b32_e32 v1, 16, v1
	s_addc_u32 s21, s21, 0
	s_mov_b32 s0, exec_lo
	v_add_nc_u32_e32 v2, s6, v1
	s_waitcnt lgkmcnt(0)
	v_cmpx_gt_u64_e64 s[16:17], v[2:3]
	s_cbranch_execz .LBB0_2
; %bb.1:
	s_clause 0x1
	s_load_dwordx4 s[8:11], s[4:5], 0x18
	s_load_dwordx4 s[0:3], s[4:5], 0x0
	v_mov_b32_e32 v4, v2
	v_mul_lo_u16 v1, v1, 49
	v_sub_nc_u16 v8, v0, v1
	v_and_b32_e32 v6, 0xffff, v8
	v_lshlrev_b32_e32 v132, 2, v6
	s_waitcnt lgkmcnt(0)
	s_load_dwordx4 s[12:15], s[8:9], 0x0
	buffer_store_dword v4, off, s[20:23], 0 offset:148 ; 4-byte Folded Spill
	buffer_store_dword v5, off, s[20:23], 0 offset:152 ; 4-byte Folded Spill
	s_clause 0x1
	global_load_dword v59, v132, s[0:1]
	global_load_dword v211, v132, s[0:1] offset:1372
	v_add_co_u32 v198, s6, s0, v132
	v_add_co_ci_u32_e64 v199, null, s1, 0, s6
	v_add_nc_u32_e32 v193, 0x400, v132
	v_add_nc_u32_e32 v183, 0x1000, v132
	;; [unrolled: 1-line block ×9, first 2 shown]
	s_waitcnt lgkmcnt(0)
	v_mad_u64_u32 v[0:1], null, s14, v2, 0
	v_mad_u64_u32 v[2:3], null, s12, v6, 0
	s_mul_i32 s6, s13, 0x55c
	s_mul_hi_u32 s8, s12, 0x55c
	s_mul_i32 s7, s12, 0x55c
	s_add_i32 s6, s8, s6
	s_mul_hi_u32 s9, s12, 0xffffe09c
	s_mul_i32 s8, s13, 0xffffe09c
	v_mad_u64_u32 v[4:5], null, s15, v4, v[1:2]
	v_mov_b32_e32 v1, v6
	v_mov_b32_e32 v105, v1
	v_mad_u64_u32 v[5:6], null, s13, v1, v[3:4]
	v_mov_b32_e32 v1, v4
	s_sub_i32 s13, s9, s12
	s_mul_i32 s9, s12, 0xffffe09c
	s_add_i32 s8, s13, s8
	s_mov_b32 s12, 0xb4e81b4f
	s_mov_b32 s13, 0x3f3b4e81
	v_mov_b32_e32 v3, v5
	v_lshlrev_b64 v[4:5], 2, v[0:1]
	v_add_co_u32 v0, vcc_lo, 0x800, v198
	v_add_co_ci_u32_e32 v1, vcc_lo, 0, v199, vcc_lo
	v_lshlrev_b64 v[2:3], 2, v[2:3]
	v_add_co_u32 v6, vcc_lo, s18, v4
	v_add_co_ci_u32_e32 v7, vcc_lo, s19, v5, vcc_lo
	v_add_co_u32 v4, vcc_lo, 0x1000, v198
	v_add_co_ci_u32_e32 v5, vcc_lo, 0, v199, vcc_lo
	v_add_co_u32 v2, vcc_lo, v6, v2
	v_add_co_ci_u32_e32 v3, vcc_lo, v7, v3, vcc_lo
	global_load_dword v215, v[0:1], off offset:696
	global_load_dword v10, v[2:3], off
	v_add_co_u32 v2, vcc_lo, v2, s7
	v_add_co_ci_u32_e32 v3, vcc_lo, s6, v3, vcc_lo
	v_add_co_u32 v6, vcc_lo, v2, s7
	global_load_dword v11, v[2:3], off
	v_add_co_ci_u32_e32 v7, vcc_lo, s6, v3, vcc_lo
	global_load_dword v9, v[6:7], off
	v_add_co_u32 v2, vcc_lo, v6, s7
	v_add_co_ci_u32_e32 v3, vcc_lo, s6, v7, vcc_lo
	v_add_co_u32 v6, vcc_lo, v2, s7
	v_add_co_ci_u32_e32 v7, vcc_lo, s6, v3, vcc_lo
	s_clause 0x1
	global_load_dword v64, v[4:5], off offset:20
	global_load_dword v53, v[4:5], off offset:1392
	s_clause 0x1
	global_load_dword v13, v[2:3], off
	global_load_dword v12, v[6:7], off
	v_add_co_u32 v6, vcc_lo, v6, s7
	v_add_co_ci_u32_e32 v7, vcc_lo, s6, v7, vcc_lo
	v_add_co_u32 v2, vcc_lo, 0x1800, v198
	v_add_co_ci_u32_e32 v3, vcc_lo, 0, v199, vcc_lo
	global_load_dword v14, v[6:7], off
	global_load_dword v47, v[2:3], off offset:716
	v_add_co_u32 v81, vcc_lo, 0x2000, v198
	v_add_co_ci_u32_e32 v82, vcc_lo, 0, v199, vcc_lo
	v_add_co_u32 v6, vcc_lo, v6, s7
	v_add_co_ci_u32_e32 v7, vcc_lo, s6, v7, vcc_lo
	global_load_dword v52, v[81:82], off offset:40
	global_load_dword v15, v[6:7], off
	v_add_co_u32 v6, vcc_lo, v6, s9
	v_add_co_ci_u32_e32 v7, vcc_lo, s8, v7, vcc_lo
	global_load_dword v16, v[6:7], off
	s_clause 0x16
	global_load_dword v60, v132, s[0:1] offset:196
	global_load_dword v58, v132, s[0:1] offset:392
	;; [unrolled: 1-line block ×6, first 2 shown]
	global_load_dword v197, v[0:1], off offset:892
	global_load_dword v56, v[0:1], off offset:1088
	;; [unrolled: 1-line block ×17, first 2 shown]
	v_add_co_u32 v6, vcc_lo, v6, s7
	v_add_co_ci_u32_e32 v7, vcc_lo, s6, v7, vcc_lo
	global_load_dword v37, v[4:5], off offset:1196
	v_add_co_u32 v4, vcc_lo, v6, s7
	v_add_co_ci_u32_e32 v5, vcc_lo, s6, v7, vcc_lo
	global_load_dword v17, v[6:7], off
	v_add_co_u32 v6, vcc_lo, v4, s7
	v_add_co_ci_u32_e32 v7, vcc_lo, s6, v5, vcc_lo
	global_load_dword v18, v[4:5], off
	;; [unrolled: 3-line block ×15, first 2 shown]
	v_add_co_u32 v6, vcc_lo, v4, s7
	global_load_dword v36, v[4:5], off
	v_add_co_ci_u32_e32 v7, vcc_lo, s6, v5, vcc_lo
	s_waitcnt vmcnt(54)
	buffer_store_dword v59, off, s[20:23], 0 offset:172 ; 4-byte Folded Spill
	s_waitcnt vmcnt(51)
	v_lshrrev_b32_e32 v32, 16, v10
	v_mul_f16_sdwa v33, v59, v10 dst_sel:DWORD dst_unused:UNUSED_PAD src0_sel:WORD_1 src1_sel:DWORD
	v_mul_f16_sdwa v34, v59, v32 dst_sel:DWORD dst_unused:UNUSED_PAD src0_sel:WORD_1 src1_sel:DWORD
	v_fma_f16 v5, v59, v32, -v33
	s_waitcnt vmcnt(50)
	v_lshrrev_b32_e32 v35, 16, v11
	v_mul_f16_sdwa v4, v211, v11 dst_sel:DWORD dst_unused:UNUSED_PAD src0_sel:WORD_1 src1_sel:DWORD
	v_fmac_f16_e32 v34, v59, v10
	v_mul_f16_sdwa v10, v211, v35 dst_sel:DWORD dst_unused:UNUSED_PAD src0_sel:WORD_1 src1_sel:DWORD
	s_waitcnt vmcnt(49)
	v_lshrrev_b32_e32 v32, 16, v9
	v_mul_f16_sdwa v33, v215, v9 dst_sel:DWORD dst_unused:UNUSED_PAD src0_sel:WORD_1 src1_sel:DWORD
	v_fma_f16 v4, v211, v35, -v4
	v_pack_b32_f16 v5, v34, v5
	v_fmac_f16_e32 v10, v211, v11
	v_mul_f16_sdwa v11, v215, v32 dst_sel:DWORD dst_unused:UNUSED_PAD src0_sel:WORD_1 src1_sel:DWORD
	v_fma_f16 v32, v215, v32, -v33
	s_waitcnt vmcnt(48)
	buffer_store_dword v64, off, s[20:23], 0 offset:188 ; 4-byte Folded Spill
	s_waitcnt vmcnt(47)
	buffer_store_dword v53, off, s[20:23], 0 offset:168 ; 4-byte Folded Spill
	s_waitcnt vmcnt(46)
	v_lshrrev_b32_e32 v33, 16, v13
	v_mul_f16_sdwa v34, v64, v13 dst_sel:DWORD dst_unused:UNUSED_PAD src0_sel:WORD_1 src1_sel:DWORD
	v_fmac_f16_e32 v11, v215, v9
	v_pack_b32_f16 v4, v10, v4
	global_load_dword v35, v[2:3], off offset:520
	v_mul_f16_sdwa v9, v64, v33 dst_sel:DWORD dst_unused:UNUSED_PAD src0_sel:WORD_1 src1_sel:DWORD
	v_fma_f16 v10, v64, v33, -v34
	s_waitcnt vmcnt(46)
	v_lshrrev_b32_e32 v33, 16, v12
	ds_write_b32 v132, v4 offset:1372
	v_mul_f16_sdwa v34, v53, v12 dst_sel:DWORD dst_unused:UNUSED_PAD src0_sel:WORD_1 src1_sel:DWORD
	v_fmac_f16_e32 v9, v64, v13
	v_pack_b32_f16 v11, v11, v32
	v_mul_f16_sdwa v4, v53, v33 dst_sel:DWORD dst_unused:UNUSED_PAD src0_sel:WORD_1 src1_sel:DWORD
	s_waitcnt vmcnt(45)
	v_lshrrev_b32_e32 v13, 16, v14
	s_waitcnt vmcnt(44)
	v_mul_f16_sdwa v32, v47, v14 dst_sel:DWORD dst_unused:UNUSED_PAD src0_sel:WORD_1 src1_sel:DWORD
	v_pack_b32_f16 v9, v9, v10
	v_fma_f16 v33, v53, v33, -v34
	v_fmac_f16_e32 v4, v53, v12
	v_mov_b32_e32 v12, v47
	ds_write_b32 v132, v11 offset:2744
	ds_write_b32 v132, v9 offset:4116
	v_fma_f16 v10, v47, v13, -v32
	v_mul_f16_sdwa v11, v47, v13 dst_sel:DWORD dst_unused:UNUSED_PAD src0_sel:WORD_1 src1_sel:DWORD
	buffer_store_dword v12, off, s[20:23], 0 offset:164 ; 4-byte Folded Spill
	v_pack_b32_f16 v4, v4, v33
	s_clause 0x7
	global_load_dword v59, v[81:82], off offset:236
	global_load_dword v53, v[81:82], off offset:432
	;; [unrolled: 1-line block ×6, first 2 shown]
	global_load_dword v194, v132, s[0:1] offset:1568
	global_load_dword v13, v132, s[0:1] offset:1764
	v_fmac_f16_e32 v11, v12, v14
	s_waitcnt vmcnt(50)
	v_lshrrev_b32_e32 v9, 16, v15
	ds_write_b32 v132, v4 offset:5488
	v_mul_f16_sdwa v4, v52, v15 dst_sel:DWORD dst_unused:UNUSED_PAD src0_sel:WORD_1 src1_sel:DWORD
	s_waitcnt vmcnt(48)
	v_mul_f16_sdwa v12, v60, v16 dst_sel:DWORD dst_unused:UNUSED_PAD src0_sel:WORD_1 src1_sel:DWORD
	v_pack_b32_f16 v10, v11, v10
	v_lshrrev_b32_e32 v11, 16, v16
	v_add_nc_u32_e32 v14, 0xa00, v132
	v_fma_f16 v4, v52, v9, -v4
	v_mul_f16_sdwa v9, v52, v9 dst_sel:DWORD dst_unused:UNUSED_PAD src0_sel:WORD_1 src1_sel:DWORD
	ds_write_b32 v132, v10 offset:6860
	v_fma_f16 v12, v60, v11, -v12
	v_mul_f16_sdwa v11, v60, v11 dst_sel:DWORD dst_unused:UNUSED_PAD src0_sel:WORD_1 src1_sel:DWORD
	v_mov_b32_e32 v181, v14
	v_fmac_f16_e32 v9, v52, v15
	s_waitcnt vmcnt(24)
	v_lshrrev_b32_e32 v10, 16, v17
	global_load_dword v15, v[6:7], off
	v_fmac_f16_e32 v11, v60, v16
	buffer_store_dword v52, off, s[20:23], 0 offset:156 ; 4-byte Folded Spill
	v_pack_b32_f16 v4, v9, v4
	global_load_dword v52, v132, s[0:1] offset:1960
	buffer_store_dword v60, off, s[20:23], 0 offset:160 ; 4-byte Folded Spill
	v_pack_b32_f16 v9, v11, v12
	buffer_store_dword v56, off, s[20:23], 0 offset:124 ; 4-byte Folded Spill
	ds_write_b32 v132, v4 offset:8232
	buffer_store_dword v61, off, s[20:23], 0 offset:144 ; 4-byte Folded Spill
	buffer_store_dword v62, off, s[20:23], 0 offset:140 ; 4-byte Folded Spill
	ds_write2_b32 v132, v5, v9 offset1:49
	s_waitcnt vmcnt(25)
	v_lshrrev_b32_e32 v5, 16, v18
	v_mul_f16_sdwa v9, v197, v18 dst_sel:DWORD dst_unused:UNUSED_PAD src0_sel:WORD_1 src1_sel:DWORD
	buffer_store_dword v63, off, s[20:23], 0 offset:180 ; 4-byte Folded Spill
	buffer_store_dword v57, off, s[20:23], 0 offset:128 ; 4-byte Folded Spill
	;; [unrolled: 1-line block ×3, first 2 shown]
	v_mul_f16_sdwa v11, v197, v5 dst_sel:DWORD dst_unused:UNUSED_PAD src0_sel:WORD_1 src1_sel:DWORD
	v_fma_f16 v9, v197, v5, -v9
	buffer_store_dword v55, off, s[20:23], 0 offset:120 ; 4-byte Folded Spill
	buffer_store_dword v54, off, s[20:23], 0 offset:116 ; 4-byte Folded Spill
	;; [unrolled: 1-line block ×3, first 2 shown]
	v_fmac_f16_e32 v11, v197, v18
	s_waitcnt vmcnt(19)
	v_lshrrev_b32_e32 v5, 16, v24
	s_waitcnt vmcnt(9)
	buffer_store_dword v59, off, s[20:23], 0 offset:136 ; 4-byte Folded Spill
	s_waitcnt vmcnt(8)
	buffer_store_dword v53, off, s[20:23], 0 offset:108 ; 4-byte Folded Spill
	s_waitcnt vmcnt(3)
	v_mul_f16_sdwa v4, v194, v17 dst_sel:DWORD dst_unused:UNUSED_PAD src0_sel:WORD_1 src1_sel:DWORD
	s_waitcnt vmcnt(2)
	v_mul_f16_sdwa v12, v13, v5 dst_sel:DWORD dst_unused:UNUSED_PAD src0_sel:WORD_1 src1_sel:DWORD
	buffer_store_dword v13, off, s[20:23], 0 offset:176 ; 4-byte Folded Spill
	v_fma_f16 v4, v194, v10, -v4
	v_mul_f16_sdwa v10, v194, v10 dst_sel:DWORD dst_unused:UNUSED_PAD src0_sel:WORD_1 src1_sel:DWORD
	v_fmac_f16_e32 v12, v13, v24
	v_fmac_f16_e32 v10, v194, v17
	v_pack_b32_f16 v4, v10, v4
	v_mul_f16_sdwa v10, v13, v24 dst_sel:DWORD dst_unused:UNUSED_PAD src0_sel:WORD_1 src1_sel:DWORD
	v_fma_f16 v5, v13, v5, -v10
	v_lshrrev_b32_e32 v10, 16, v25
	v_mul_f16_sdwa v13, v56, v25 dst_sel:DWORD dst_unused:UNUSED_PAD src0_sel:WORD_1 src1_sel:DWORD
	s_waitcnt vmcnt(0)
	buffer_store_dword v52, off, s[20:23], 0 offset:104 ; 4-byte Folded Spill
	v_pack_b32_f16 v5, v12, v5
	v_lshrrev_b32_e32 v12, 16, v19
	v_fma_f16 v13, v56, v10, -v13
	v_mul_f16_sdwa v10, v56, v10 dst_sel:DWORD dst_unused:UNUSED_PAD src0_sel:WORD_1 src1_sel:DWORD
	ds_write2_b32 v193, v4, v5 offset0:136 offset1:185
	v_add_co_u32 v4, vcc_lo, v6, s7
	v_fmac_f16_e32 v10, v56, v25
	v_add_co_ci_u32_e32 v5, vcc_lo, s6, v7, vcc_lo
	v_mul_f16_sdwa v6, v61, v19 dst_sel:DWORD dst_unused:UNUSED_PAD src0_sel:WORD_1 src1_sel:DWORD
	v_pack_b32_f16 v7, v11, v9
	v_mul_f16_sdwa v9, v61, v12 dst_sel:DWORD dst_unused:UNUSED_PAD src0_sel:WORD_1 src1_sel:DWORD
	v_pack_b32_f16 v10, v10, v13
	v_mul_f16_sdwa v13, v62, v20 dst_sel:DWORD dst_unused:UNUSED_PAD src0_sel:WORD_1 src1_sel:DWORD
	v_fma_f16 v11, v61, v12, -v6
	v_lshrrev_b32_e32 v12, 16, v20
	v_fmac_f16_e32 v9, v61, v19
	v_add_co_u32 v6, vcc_lo, v4, s7
	ds_write2_b32 v14, v7, v10 offset0:95 offset1:144
	v_add_co_ci_u32_e32 v7, vcc_lo, s6, v5, vcc_lo
	global_load_dword v16, v[4:5], off
	v_mul_f16_sdwa v5, v62, v12 dst_sel:DWORD dst_unused:UNUSED_PAD src0_sel:WORD_1 src1_sel:DWORD
	v_lshrrev_b32_e32 v10, 16, v21
	v_pack_b32_f16 v9, v9, v11
	v_mul_f16_sdwa v11, v63, v21 dst_sel:DWORD dst_unused:UNUSED_PAD src0_sel:WORD_1 src1_sel:DWORD
	v_fma_f16 v4, v62, v12, -v13
	v_fmac_f16_e32 v5, v62, v20
	v_mul_f16_sdwa v12, v63, v10 dst_sel:DWORD dst_unused:UNUSED_PAD src0_sel:WORD_1 src1_sel:DWORD
	v_mul_f16_sdwa v14, v59, v22 dst_sel:DWORD dst_unused:UNUSED_PAD src0_sel:WORD_1 src1_sel:DWORD
	v_fma_f16 v10, v63, v10, -v11
	v_lshrrev_b32_e32 v11, 16, v26
	v_pack_b32_f16 v4, v5, v4
	v_mul_f16_sdwa v5, v57, v26 dst_sel:DWORD dst_unused:UNUSED_PAD src0_sel:WORD_1 src1_sel:DWORD
	v_fmac_f16_e32 v12, v63, v21
	v_mul_f16_sdwa v13, v57, v11 dst_sel:DWORD dst_unused:UNUSED_PAD src0_sel:WORD_1 src1_sel:DWORD
	v_fma_f16 v5, v57, v11, -v5
	v_lshrrev_b32_e32 v11, 16, v22
	v_pack_b32_f16 v10, v12, v10
	v_fmac_f16_e32 v13, v57, v26
	v_mul_f16_sdwa v12, v55, v27 dst_sel:DWORD dst_unused:UNUSED_PAD src0_sel:WORD_1 src1_sel:DWORD
	v_fma_f16 v14, v59, v11, -v14
	v_mul_f16_sdwa v11, v59, v11 dst_sel:DWORD dst_unused:UNUSED_PAD src0_sel:WORD_1 src1_sel:DWORD
	v_pack_b32_f16 v5, v13, v5
	v_lshrrev_b32_e32 v13, 16, v23
	v_fmac_f16_e32 v11, v59, v22
	ds_write2_b32 v183, v9, v5 offset0:54 offset1:103
	v_lshrrev_b32_e32 v5, 16, v27
	v_mul_f16_sdwa v9, v58, v23 dst_sel:DWORD dst_unused:UNUSED_PAD src0_sel:WORD_1 src1_sel:DWORD
	v_mul_f16_sdwa v18, v58, v13 dst_sel:DWORD dst_unused:UNUSED_PAD src0_sel:WORD_1 src1_sel:DWORD
	v_pack_b32_f16 v11, v11, v14
	global_load_dword v22, v[0:1], off offset:108
	v_mul_f16_sdwa v14, v55, v5 dst_sel:DWORD dst_unused:UNUSED_PAD src0_sel:WORD_1 src1_sel:DWORD
	v_fma_f16 v17, v58, v13, -v9
	v_fma_f16 v5, v55, v5, -v12
	v_lshrrev_b32_e32 v9, 16, v28
	v_mul_f16_sdwa v12, v54, v28 dst_sel:DWORD dst_unused:UNUSED_PAD src0_sel:WORD_1 src1_sel:DWORD
	v_fmac_f16_e32 v14, v55, v27
	v_fmac_f16_e32 v18, v58, v23
	global_load_dword v23, v[0:1], off offset:304
	v_mul_f16_sdwa v13, v54, v9 dst_sel:DWORD dst_unused:UNUSED_PAD src0_sel:WORD_1 src1_sel:DWORD
	v_fma_f16 v9, v54, v9, -v12
	v_pack_b32_f16 v5, v14, v5
	v_lshrrev_b32_e32 v12, 16, v29
	v_mul_f16_sdwa v14, v53, v29 dst_sel:DWORD dst_unused:UNUSED_PAD src0_sel:WORD_1 src1_sel:DWORD
	v_fmac_f16_e32 v13, v54, v28
	v_pack_b32_f16 v17, v18, v17
	ds_write2_b32 v184, v4, v5 offset0:141 offset1:190
	v_mul_f16_sdwa v19, v53, v12 dst_sel:DWORD dst_unused:UNUSED_PAD src0_sel:WORD_1 src1_sel:DWORD
	v_lshrrev_b32_e32 v4, 16, v30
	v_mul_f16_sdwa v5, v51, v30 dst_sel:DWORD dst_unused:UNUSED_PAD src0_sel:WORD_1 src1_sel:DWORD
	v_fma_f16 v12, v53, v12, -v14
	v_pack_b32_f16 v9, v13, v9
	v_add_nc_u32_e32 v13, 0x1a00, v132
	v_fmac_f16_e32 v19, v53, v29
	v_fma_f16 v20, v51, v4, -v5
	v_mul_f16_sdwa v21, v51, v4 dst_sel:DWORD dst_unused:UNUSED_PAD src0_sel:WORD_1 src1_sel:DWORD
	v_add_co_u32 v4, vcc_lo, v6, s7
	v_add_co_ci_u32_e32 v5, vcc_lo, s6, v7, vcc_lo
	ds_write2_b32 v13, v10, v9 offset0:100 offset1:149
	v_pack_b32_f16 v12, v19, v12
	v_add_co_u32 v9, vcc_lo, v4, s9
	v_add_co_ci_u32_e32 v10, vcc_lo, s8, v5, vcc_lo
	ds_write2_b32 v182, v11, v12 offset0:59 offset1:108
	v_add_co_u32 v11, vcc_lo, v9, s7
	v_add_co_ci_u32_e32 v12, vcc_lo, s6, v10, vcc_lo
	v_mov_b32_e32 v233, v13
	v_add_co_u32 v13, vcc_lo, v11, s7
	global_load_dword v19, v[11:12], off
	v_fmac_f16_e32 v21, v51, v30
	v_add_co_ci_u32_e32 v14, vcc_lo, s6, v12, vcc_lo
	v_add_co_u32 v11, vcc_lo, v13, s7
	v_pack_b32_f16 v18, v21, v20
	global_load_dword v20, v[13:14], off
	v_add_co_ci_u32_e32 v12, vcc_lo, s6, v14, vcc_lo
	v_add_co_u32 v13, vcc_lo, v11, s7
	ds_write2_b32 v132, v17, v18 offset0:98 offset1:147
	global_load_dword v11, v[11:12], off
	v_add_co_ci_u32_e32 v14, vcc_lo, s6, v12, vcc_lo
	v_lshrrev_b32_e32 v12, 16, v31
	v_mul_f16_sdwa v17, v52, v31 dst_sel:DWORD dst_unused:UNUSED_PAD src0_sel:WORD_1 src1_sel:DWORD
	v_fma_f16 v17, v52, v12, -v17
	v_mul_f16_sdwa v12, v52, v12 dst_sel:DWORD dst_unused:UNUSED_PAD src0_sel:WORD_1 src1_sel:DWORD
	v_fmac_f16_e32 v12, v52, v31
	s_waitcnt vmcnt(4)
	buffer_store_dword v22, off, s[20:23], 0 offset:76 ; 4-byte Folded Spill
	s_waitcnt vmcnt(2)
	v_lshrrev_b32_e32 v18, 16, v19
	v_mul_f16_sdwa v21, v22, v19 dst_sel:DWORD dst_unused:UNUSED_PAD src0_sel:WORD_1 src1_sel:DWORD
	v_fma_f16 v21, v22, v18, -v21
	v_mul_f16_sdwa v18, v22, v18 dst_sel:DWORD dst_unused:UNUSED_PAD src0_sel:WORD_1 src1_sel:DWORD
	v_fmac_f16_e32 v18, v22, v19
	global_load_dword v19, v[6:7], off
	global_load_dword v22, v[4:5], off
	v_pack_b32_f16 v4, v12, v17
	global_load_dword v9, v[9:10], off
	v_add_nc_u32_e32 v10, 0x1600, v132
	v_pack_b32_f16 v5, v18, v21
	buffer_store_dword v23, off, s[20:23], 0 offset:48 ; 4-byte Folded Spill
	buffer_store_dword v50, off, s[20:23], 0 offset:100 ; 4-byte Folded Spill
	;; [unrolled: 1-line block ×4, first 2 shown]
	ds_write2_b32 v191, v4, v5 offset0:106 offset1:155
	v_lshrrev_b32_e32 v4, 16, v36
	v_mul_f16_sdwa v5, v50, v36 dst_sel:DWORD dst_unused:UNUSED_PAD src0_sel:WORD_1 src1_sel:DWORD
	buffer_store_dword v43, off, s[20:23], 0 offset:68 ; 4-byte Folded Spill
	buffer_store_dword v48, off, s[20:23], 0 offset:92 ; 4-byte Folded Spill
	;; [unrolled: 1-line block ×3, first 2 shown]
	v_mul_f16_sdwa v7, v50, v4 dst_sel:DWORD dst_unused:UNUSED_PAD src0_sel:WORD_1 src1_sel:DWORD
	v_fma_f16 v6, v50, v4, -v5
	s_waitcnt vmcnt(4)
	v_lshrrev_b32_e32 v4, 16, v20
	v_mul_f16_sdwa v5, v44, v20 dst_sel:DWORD dst_unused:UNUSED_PAD src0_sel:WORD_1 src1_sel:DWORD
	buffer_store_dword v47, off, s[20:23], 0 offset:84 ; 4-byte Folded Spill
	v_fmac_f16_e32 v7, v50, v36
	buffer_store_dword v42, off, s[20:23], 0 offset:60 ; 4-byte Folded Spill
	v_mul_f16_sdwa v17, v44, v4 dst_sel:DWORD dst_unused:UNUSED_PAD src0_sel:WORD_1 src1_sel:DWORD
	v_fma_f16 v12, v44, v4, -v5
	v_add_co_u32 v4, vcc_lo, v13, s7
	v_pack_b32_f16 v6, v7, v6
	v_fmac_f16_e32 v17, v44, v20
	v_add_co_ci_u32_e32 v5, vcc_lo, s6, v14, vcc_lo
	global_load_dword v13, v[13:14], off
	buffer_store_dword v34, off, s[20:23], 0 offset:56 ; 4-byte Folded Spill
	v_pack_b32_f16 v7, v17, v12
	buffer_store_dword v45, off, s[20:23], 0 offset:80 ; 4-byte Folded Spill
	buffer_store_dword v41, off, s[20:23], 0 offset:52 ; 4-byte Folded Spill
	;; [unrolled: 1-line block ×3, first 2 shown]
	global_load_dword v24, v[2:3], off offset:324
	ds_write2_b32 v186, v6, v7 offset0:65 offset1:114
	v_lshrrev_b32_e32 v6, 16, v15
	v_mul_f16_sdwa v7, v49, v15 dst_sel:DWORD dst_unused:UNUSED_PAD src0_sel:WORD_1 src1_sel:DWORD
	v_mul_f16_sdwa v14, v49, v6 dst_sel:DWORD dst_unused:UNUSED_PAD src0_sel:WORD_1 src1_sel:DWORD
	v_fma_f16 v12, v49, v6, -v7
	s_waitcnt vmcnt(5)
	v_lshrrev_b32_e32 v6, 16, v11
	v_mul_f16_sdwa v7, v43, v11 dst_sel:DWORD dst_unused:UNUSED_PAD src0_sel:WORD_1 src1_sel:DWORD
	v_fmac_f16_e32 v14, v49, v15
	v_mul_f16_sdwa v17, v43, v6 dst_sel:DWORD dst_unused:UNUSED_PAD src0_sel:WORD_1 src1_sel:DWORD
	v_fma_f16 v15, v43, v6, -v7
	v_add_co_u32 v6, vcc_lo, v4, s7
	v_add_co_ci_u32_e32 v7, vcc_lo, s6, v5, vcc_lo
	v_fmac_f16_e32 v17, v43, v11
	global_load_dword v11, v[4:5], off
	v_add_co_u32 v4, vcc_lo, v6, s9
	v_pack_b32_f16 v12, v14, v12
	v_pack_b32_f16 v14, v17, v15
	v_add_co_ci_u32_e32 v5, vcc_lo, s8, v7, vcc_lo
	global_load_dword v15, v[6:7], off
	v_lshrrev_b32_e32 v6, 16, v16
	v_mul_f16_sdwa v7, v48, v16 dst_sel:DWORD dst_unused:UNUSED_PAD src0_sel:WORD_1 src1_sel:DWORD
	ds_write2_b32 v183, v12, v14 offset0:152 offset1:201
	v_fma_f16 v7, v48, v6, -v7
	v_mul_f16_sdwa v6, v48, v6 dst_sel:DWORD dst_unused:UNUSED_PAD src0_sel:WORD_1 src1_sel:DWORD
	v_fmac_f16_e32 v6, v48, v16
	global_load_dword v16, v[2:3], off offset:128
	v_pack_b32_f16 v6, v6, v7
	s_waitcnt vmcnt(4)
	v_lshrrev_b32_e32 v12, 16, v13
	s_waitcnt vmcnt(0)
	v_mul_f16_sdwa v14, v16, v13 dst_sel:DWORD dst_unused:UNUSED_PAD src0_sel:WORD_1 src1_sel:DWORD
	buffer_store_dword v16, off, s[20:23], 0 offset:64 ; 4-byte Folded Spill
	v_fma_f16 v14, v16, v12, -v14
	v_mul_f16_sdwa v12, v16, v12 dst_sel:DWORD dst_unused:UNUSED_PAD src0_sel:WORD_1 src1_sel:DWORD
	v_fmac_f16_e32 v12, v16, v13
	v_mul_f16_sdwa v16, v42, v11 dst_sel:DWORD dst_unused:UNUSED_PAD src0_sel:WORD_1 src1_sel:DWORD
	v_mul_f16_sdwa v13, v47, v22 dst_sel:DWORD dst_unused:UNUSED_PAD src0_sel:WORD_1 src1_sel:DWORD
	v_pack_b32_f16 v7, v12, v14
	v_lshrrev_b32_e32 v14, 16, v11
	v_lshrrev_b32_e32 v12, 16, v22
	ds_write2_b32 v10, v6, v7 offset0:111 offset1:160
	v_add_co_u32 v6, vcc_lo, v4, s7
	global_load_dword v4, v[4:5], off
	v_add_co_ci_u32_e32 v7, vcc_lo, s6, v5, vcc_lo
	v_lshrrev_b32_e32 v5, 16, v19
	v_mul_f16_sdwa v10, v46, v19 dst_sel:DWORD dst_unused:UNUSED_PAD src0_sel:WORD_1 src1_sel:DWORD
	v_fma_f16 v16, v42, v14, -v16
	v_mul_f16_sdwa v14, v42, v14 dst_sel:DWORD dst_unused:UNUSED_PAD src0_sel:WORD_1 src1_sel:DWORD
	v_fma_f16 v13, v47, v12, -v13
	;; [unrolled: 2-line block ×3, first 2 shown]
	v_mul_f16_sdwa v5, v46, v5 dst_sel:DWORD dst_unused:UNUSED_PAD src0_sel:WORD_1 src1_sel:DWORD
	v_fmac_f16_e32 v14, v42, v11
	global_load_dword v21, v[6:7], off
	v_fmac_f16_e32 v12, v47, v22
	v_fmac_f16_e32 v5, v46, v19
	v_pack_b32_f16 v11, v14, v16
	v_pack_b32_f16 v5, v5, v10
	;; [unrolled: 1-line block ×3, first 2 shown]
	v_lshrrev_b32_e32 v12, 16, v9
	v_mul_f16_sdwa v13, v45, v9 dst_sel:DWORD dst_unused:UNUSED_PAD src0_sel:WORD_1 src1_sel:DWORD
	ds_write2_b32 v188, v5, v11 offset0:70 offset1:119
	v_lshrrev_b32_e32 v5, 16, v15
	v_mul_f16_sdwa v11, v34, v15 dst_sel:DWORD dst_unused:UNUSED_PAD src0_sel:WORD_1 src1_sel:DWORD
	v_fma_f16 v13, v45, v12, -v13
	v_mul_f16_sdwa v12, v45, v12 dst_sel:DWORD dst_unused:UNUSED_PAD src0_sel:WORD_1 src1_sel:DWORD
	v_fma_f16 v11, v34, v5, -v11
	v_mul_f16_sdwa v5, v34, v5 dst_sel:DWORD dst_unused:UNUSED_PAD src0_sel:WORD_1 src1_sel:DWORD
	v_fmac_f16_e32 v12, v45, v9
	v_fmac_f16_e32 v5, v34, v15
	v_pack_b32_f16 v12, v12, v13
	v_pack_b32_f16 v5, v5, v11
	ds_write2_b32 v182, v10, v5 offset0:157 offset1:206
	s_waitcnt vmcnt(1)
	v_lshrrev_b32_e32 v9, 16, v4
	v_mul_f16_sdwa v11, v41, v4 dst_sel:DWORD dst_unused:UNUSED_PAD src0_sel:WORD_1 src1_sel:DWORD
	v_fma_f16 v11, v41, v9, -v11
	v_mul_f16_sdwa v9, v41, v9 dst_sel:DWORD dst_unused:UNUSED_PAD src0_sel:WORD_1 src1_sel:DWORD
	v_fmac_f16_e32 v9, v41, v4
	v_add_co_u32 v4, vcc_lo, v6, s7
	v_add_co_ci_u32_e32 v5, vcc_lo, s6, v7, vcc_lo
	v_pack_b32_f16 v11, v9, v11
	v_add_co_u32 v9, vcc_lo, v4, s7
	v_add_co_ci_u32_e32 v10, vcc_lo, s6, v5, vcc_lo
	ds_write2_b32 v132, v12, v11 offset0:196 offset1:245
	v_add_co_u32 v11, vcc_lo, v9, s7
	v_add_co_ci_u32_e32 v12, vcc_lo, s6, v10, vcc_lo
	s_waitcnt vmcnt(0)
	v_mul_f16_sdwa v22, v23, v21 dst_sel:DWORD dst_unused:UNUSED_PAD src0_sel:WORD_1 src1_sel:DWORD
	v_add_co_u32 v6, vcc_lo, v11, s7
	v_add_co_ci_u32_e32 v7, vcc_lo, s6, v12, vcc_lo
	v_add_co_u32 v13, vcc_lo, v6, s7
	v_add_co_ci_u32_e32 v14, vcc_lo, s6, v7, vcc_lo
	;; [unrolled: 2-line block ×4, first 2 shown]
	v_add_co_u32 v19, vcc_lo, v17, s7
	global_load_dword v17, v[17:18], off
	v_add_co_ci_u32_e32 v20, vcc_lo, s6, v18, vcc_lo
	v_lshrrev_b32_e32 v18, 16, v21
	v_fma_f16 v22, v23, v18, -v22
	v_mul_f16_sdwa v18, v23, v18 dst_sel:DWORD dst_unused:UNUSED_PAD src0_sel:WORD_1 src1_sel:DWORD
	v_fmac_f16_e32 v18, v23, v21
	s_waitcnt vmcnt(0)
	v_lshrrev_b32_e32 v21, 16, v17
	v_mul_f16_sdwa v23, v38, v17 dst_sel:DWORD dst_unused:UNUSED_PAD src0_sel:WORD_1 src1_sel:DWORD
	v_fma_f16 v23, v38, v21, -v23
	v_mul_f16_sdwa v21, v38, v21 dst_sel:DWORD dst_unused:UNUSED_PAD src0_sel:WORD_1 src1_sel:DWORD
	v_fmac_f16_e32 v21, v38, v17
	v_pack_b32_f16 v17, v18, v22
	v_pack_b32_f16 v18, v21, v23
	ds_write2_b32 v187, v17, v18 offset0:76 offset1:125
	global_load_dword v17, v[4:5], off
	v_add_co_u32 v4, vcc_lo, v19, s7
	global_load_dword v18, v[19:20], off
	global_load_dword v19, v[0:1], off offset:1676
	v_add_co_ci_u32_e32 v5, vcc_lo, s6, v20, vcc_lo
	global_load_dword v20, v[0:1], off offset:1872
	global_load_dword v9, v[9:10], off
	buffer_store_dword v40, off, s[20:23], 0 offset:40 ; 4-byte Folded Spill
	buffer_store_dword v37, off, s[20:23], 0 offset:12 ; 4-byte Folded Spill
	;; [unrolled: 1-line block ×4, first 2 shown]
	global_load_dword v6, v[6:7], off
	s_waitcnt vmcnt(5)
	v_lshrrev_b32_e32 v0, 16, v17
	s_waitcnt vmcnt(3)
	v_mul_f16_sdwa v1, v19, v17 dst_sel:DWORD dst_unused:UNUSED_PAD src0_sel:WORD_1 src1_sel:DWORD
	buffer_store_dword v19, off, s[20:23], 0 offset:44 ; 4-byte Folded Spill
	s_waitcnt vmcnt(2)
	buffer_store_dword v20, off, s[20:23], 0 offset:16 ; 4-byte Folded Spill
	s_waitcnt vmcnt(1)
	v_mul_f16_sdwa v10, v40, v9 dst_sel:DWORD dst_unused:UNUSED_PAD src0_sel:WORD_1 src1_sel:DWORD
	v_fma_f16 v1, v19, v0, -v1
	v_mul_f16_sdwa v0, v19, v0 dst_sel:DWORD dst_unused:UNUSED_PAD src0_sel:WORD_1 src1_sel:DWORD
	v_fmac_f16_e32 v0, v19, v17
	v_lshrrev_b32_e32 v17, 16, v18
	v_mul_f16_sdwa v19, v20, v18 dst_sel:DWORD dst_unused:UNUSED_PAD src0_sel:WORD_1 src1_sel:DWORD
	v_pack_b32_f16 v0, v0, v1
	v_fma_f16 v19, v20, v17, -v19
	v_mul_f16_sdwa v17, v20, v17 dst_sel:DWORD dst_unused:UNUSED_PAD src0_sel:WORD_1 src1_sel:DWORD
	v_fmac_f16_e32 v17, v20, v18
	v_pack_b32_f16 v1, v17, v19
	ds_write2_b32 v186, v0, v1 offset0:163 offset1:212
	v_add_co_u32 v0, vcc_lo, v4, s7
	global_load_dword v4, v[4:5], off
	v_add_co_ci_u32_e32 v1, vcc_lo, s6, v5, vcc_lo
	v_lshrrev_b32_e32 v5, 16, v9
	v_fma_f16 v10, v40, v5, -v10
	v_mul_f16_sdwa v5, v40, v5 dst_sel:DWORD dst_unused:UNUSED_PAD src0_sel:WORD_1 src1_sel:DWORD
	v_fmac_f16_e32 v5, v40, v9
	s_waitcnt vmcnt(0)
	v_lshrrev_b32_e32 v9, 16, v4
	v_mul_f16_sdwa v17, v37, v4 dst_sel:DWORD dst_unused:UNUSED_PAD src0_sel:WORD_1 src1_sel:DWORD
	v_fma_f16 v17, v37, v9, -v17
	v_mul_f16_sdwa v9, v37, v9 dst_sel:DWORD dst_unused:UNUSED_PAD src0_sel:WORD_1 src1_sel:DWORD
	v_fmac_f16_e32 v9, v37, v4
	v_pack_b32_f16 v4, v5, v10
	v_pack_b32_f16 v5, v9, v17
	v_add_nc_u32_e32 v9, 0x1200, v132
	ds_write2_b32 v9, v4, v5 offset0:122 offset1:171
	v_mov_b32_e32 v185, v9
	global_load_dword v9, v[11:12], off
	v_add_co_u32 v4, vcc_lo, v0, s7
	global_load_dword v0, v[0:1], off
	v_add_co_ci_u32_e32 v5, vcc_lo, s6, v1, vcc_lo
	s_waitcnt vmcnt(1)
	v_lshrrev_b32_e32 v1, 16, v9
	v_mul_f16_sdwa v10, v24, v9 dst_sel:DWORD dst_unused:UNUSED_PAD src0_sel:WORD_1 src1_sel:DWORD
	s_waitcnt vmcnt(0)
	v_mul_f16_sdwa v11, v35, v0 dst_sel:DWORD dst_unused:UNUSED_PAD src0_sel:WORD_1 src1_sel:DWORD
	v_fma_f16 v10, v24, v1, -v10
	v_mul_f16_sdwa v1, v24, v1 dst_sel:DWORD dst_unused:UNUSED_PAD src0_sel:WORD_1 src1_sel:DWORD
	v_fmac_f16_e32 v1, v24, v9
	v_lshrrev_b32_e32 v9, 16, v0
	v_fma_f16 v11, v35, v9, -v11
	v_mul_f16_sdwa v9, v35, v9 dst_sel:DWORD dst_unused:UNUSED_PAD src0_sel:WORD_1 src1_sel:DWORD
	v_fmac_f16_e32 v9, v35, v0
	v_pack_b32_f16 v0, v1, v10
	v_pack_b32_f16 v1, v9, v11
	ds_write2_b32 v192, v0, v1 offset0:81 offset1:130
	v_add_co_u32 v0, vcc_lo, v4, s7
	global_load_dword v4, v[4:5], off
	s_clause 0x1
	global_load_dword v7, v[2:3], off offset:1696
	global_load_dword v9, v[2:3], off offset:1892
	v_add_co_ci_u32_e32 v1, vcc_lo, s6, v5, vcc_lo
	v_lshrrev_b32_e32 v3, 16, v6
	s_waitcnt vmcnt(1)
	buffer_store_dword v7, off, s[20:23], 0 offset:32 ; 4-byte Folded Spill
	s_waitcnt vmcnt(0)
	buffer_store_dword v9, off, s[20:23], 0 offset:4 ; 4-byte Folded Spill
	global_load_dword v2, v[13:14], off
	global_load_dword v0, v[0:1], off
	;; [unrolled: 1-line block ×3, first 2 shown]
	v_mul_f16_sdwa v5, v7, v6 dst_sel:DWORD dst_unused:UNUSED_PAD src0_sel:WORD_1 src1_sel:DWORD
	buffer_store_dword v33, off, s[20:23], 0 offset:28 ; 4-byte Folded Spill
	buffer_store_dword v32, off, s[20:23], 0 ; 4-byte Folded Spill
	buffer_store_dword v39, off, s[20:23], 0 offset:24 ; 4-byte Folded Spill
	v_fma_f16 v5, v7, v3, -v5
	v_mul_f16_sdwa v3, v7, v3 dst_sel:DWORD dst_unused:UNUSED_PAD src0_sel:WORD_1 src1_sel:DWORD
	v_fmac_f16_e32 v3, v7, v6
	v_lshrrev_b32_e32 v6, 16, v4
	v_mul_f16_sdwa v7, v9, v4 dst_sel:DWORD dst_unused:UNUSED_PAD src0_sel:WORD_1 src1_sel:DWORD
	v_pack_b32_f16 v3, v3, v5
	v_fma_f16 v7, v9, v6, -v7
	v_mul_f16_sdwa v6, v9, v6 dst_sel:DWORD dst_unused:UNUSED_PAD src0_sel:WORD_1 src1_sel:DWORD
	v_fmac_f16_e32 v6, v9, v4
	v_pack_b32_f16 v4, v6, v7
	ds_write2_b32 v188, v3, v4 offset0:168 offset1:217
	s_waitcnt vmcnt(2)
	v_lshrrev_b32_e32 v3, 16, v2
	v_mul_f16_sdwa v4, v33, v3 dst_sel:DWORD dst_unused:UNUSED_PAD src0_sel:WORD_1 src1_sel:DWORD
	v_fmac_f16_e32 v4, v33, v2
	v_mul_f16_sdwa v2, v33, v2 dst_sel:DWORD dst_unused:UNUSED_PAD src0_sel:WORD_1 src1_sel:DWORD
	v_fma_f16 v2, v33, v3, -v2
	s_waitcnt vmcnt(1)
	v_lshrrev_b32_e32 v3, 16, v0
	v_pack_b32_f16 v2, v4, v2
	v_mul_f16_sdwa v5, v32, v3 dst_sel:DWORD dst_unused:UNUSED_PAD src0_sel:WORD_1 src1_sel:DWORD
	v_fmac_f16_e32 v5, v32, v0
	v_mul_f16_sdwa v0, v32, v0 dst_sel:DWORD dst_unused:UNUSED_PAD src0_sel:WORD_1 src1_sel:DWORD
	v_fma_f16 v0, v32, v3, -v0
	s_waitcnt vmcnt(0)
	v_lshrrev_b32_e32 v3, 16, v1
	v_pack_b32_f16 v0, v5, v0
	v_mul_f16_sdwa v6, v39, v3 dst_sel:DWORD dst_unused:UNUSED_PAD src0_sel:WORD_1 src1_sel:DWORD
	v_fmac_f16_e32 v6, v39, v1
	v_mul_f16_sdwa v1, v39, v1 dst_sel:DWORD dst_unused:UNUSED_PAD src0_sel:WORD_1 src1_sel:DWORD
	v_fma_f16 v1, v39, v3, -v1
	v_add_nc_u32_e32 v3, 0x2200, v132
	v_pack_b32_f16 v1, v6, v1
	ds_write2_b32 v3, v2, v0 offset0:127 offset1:176
	ds_write_b32 v132, v1 offset:1176
	s_load_dwordx4 s[8:11], s[10:11], 0x0
	s_waitcnt lgkmcnt(0)
	s_waitcnt_vscnt null, 0x0
	s_barrier
	buffer_gl0_inv
	ds_read2_b32 v[5:6], v187 offset0:174 offset1:223
	ds_read2_b32 v[0:1], v192 offset0:130 offset1:179
	;; [unrolled: 1-line block ×5, first 2 shown]
	s_mul_hi_u32 s7, s8, 0x55c
	s_waitcnt lgkmcnt(3)
	v_add_f16_e32 v62, v5, v1
	v_add_f16_sdwa v4, v5, v1 dst_sel:DWORD dst_unused:UNUSED_PAD src0_sel:WORD_1 src1_sel:WORD_1
	v_sub_f16_e32 v3, v5, v1
	v_sub_f16_sdwa v2, v5, v1 dst_sel:DWORD dst_unused:UNUSED_PAD src0_sel:WORD_1 src1_sel:WORD_1
	s_waitcnt lgkmcnt(2)
	v_add_f16_e32 v59, v6, v9
	v_add_f16_sdwa v57, v6, v9 dst_sel:DWORD dst_unused:UNUSED_PAD src0_sel:WORD_1 src1_sel:WORD_1
	v_sub_f16_e32 v55, v6, v9
	v_sub_f16_sdwa v52, v6, v9 dst_sel:DWORD dst_unused:UNUSED_PAD src0_sel:WORD_1 src1_sel:WORD_1
	ds_read2_b32 v[5:6], v186 offset0:16 offset1:65
	v_add_nc_u32_e32 v1, 0xe00, v132
	ds_read2_b32 v[23:24], v1 offset0:84 offset1:133
	v_mov_b32_e32 v137, v1
	s_waitcnt lgkmcnt(1)
	v_add_f16_e32 v61, v5, v10
	v_add_f16_sdwa v60, v5, v10 dst_sel:DWORD dst_unused:UNUSED_PAD src0_sel:WORD_1 src1_sel:WORD_1
	v_sub_f16_e32 v58, v5, v10
	v_sub_f16_sdwa v56, v5, v10 dst_sel:DWORD dst_unused:UNUSED_PAD src0_sel:WORD_1 src1_sel:WORD_1
	v_add_f16_e32 v18, v6, v11
	v_add_f16_sdwa v14, v6, v11 dst_sel:DWORD dst_unused:UNUSED_PAD src0_sel:WORD_1 src1_sel:WORD_1
	v_sub_f16_e32 v10, v6, v11
	v_sub_f16_sdwa v5, v6, v11 dst_sel:DWORD dst_unused:UNUSED_PAD src0_sel:WORD_1 src1_sel:WORD_1
	ds_read2_b32 v[6:7], v186 offset0:114 offset1:163
	s_waitcnt lgkmcnt(1)
	v_add_f16_sdwa v17, v23, v22 dst_sel:DWORD dst_unused:UNUSED_PAD src0_sel:WORD_1 src1_sel:WORD_1
	v_sub_f16_e32 v13, v23, v22
	v_sub_f16_sdwa v9, v23, v22 dst_sel:DWORD dst_unused:UNUSED_PAD src0_sel:WORD_1 src1_sel:WORD_1
	s_waitcnt lgkmcnt(0)
	v_add_f16_e32 v19, v6, v12
	v_add_f16_sdwa v15, v6, v12 dst_sel:DWORD dst_unused:UNUSED_PAD src0_sel:WORD_1 src1_sel:WORD_1
	v_sub_f16_e32 v11, v6, v12
	v_sub_f16_sdwa v6, v6, v12 dst_sel:DWORD dst_unused:UNUSED_PAD src0_sel:WORD_1 src1_sel:WORD_1
	v_add_f16_e32 v20, v7, v21
	v_add_f16_sdwa v16, v7, v21 dst_sel:DWORD dst_unused:UNUSED_PAD src0_sel:WORD_1 src1_sel:WORD_1
	v_sub_f16_e32 v12, v7, v21
	v_sub_f16_sdwa v7, v7, v21 dst_sel:DWORD dst_unused:UNUSED_PAD src0_sel:WORD_1 src1_sel:WORD_1
	v_add_f16_e32 v21, v23, v22
	ds_read2_b32 v[22:23], v184 offset0:92 offset1:141
	s_waitcnt lgkmcnt(0)
	v_add_f16_e32 v65, v24, v22
	v_add_f16_sdwa v66, v24, v22 dst_sel:DWORD dst_unused:UNUSED_PAD src0_sel:WORD_1 src1_sel:WORD_1
	v_sub_f16_e32 v67, v22, v24
	v_sub_f16_sdwa v68, v22, v24 dst_sel:DWORD dst_unused:UNUSED_PAD src0_sel:WORD_1 src1_sel:WORD_1
	ds_read2_b32 v[24:25], v183 offset0:54 offset1:103
	v_sub_f16_e32 v90, v65, v62
	v_sub_f16_e32 v92, v66, v4
	;; [unrolled: 1-line block ×3, first 2 shown]
	v_mul_f16_e32 v94, 0xb846, v94
	s_waitcnt lgkmcnt(0)
	v_add_f16_e32 v69, v24, v23
	v_add_f16_sdwa v70, v24, v23 dst_sel:DWORD dst_unused:UNUSED_PAD src0_sel:WORD_1 src1_sel:WORD_1
	v_sub_f16_e32 v71, v23, v24
	v_sub_f16_sdwa v72, v23, v24 dst_sel:DWORD dst_unused:UNUSED_PAD src0_sel:WORD_1 src1_sel:WORD_1
	ds_read2_b32 v[22:23], v184 offset0:190 offset1:239
	s_waitcnt lgkmcnt(0)
	v_add_f16_e32 v73, v25, v22
	v_add_f16_sdwa v74, v25, v22 dst_sel:DWORD dst_unused:UNUSED_PAD src0_sel:WORD_1 src1_sel:WORD_1
	v_sub_f16_e32 v75, v22, v25
	v_sub_f16_sdwa v76, v22, v25 dst_sel:DWORD dst_unused:UNUSED_PAD src0_sel:WORD_1 src1_sel:WORD_1
	ds_read2_b32 v[24:25], v183 offset0:152 offset1:201
	;; [unrolled: 6-line block ×4, first 2 shown]
	s_waitcnt lgkmcnt(0)
	v_add_f16_e32 v33, v25, v23
	v_add_f16_sdwa v32, v25, v23 dst_sel:DWORD dst_unused:UNUSED_PAD src0_sel:WORD_1 src1_sel:WORD_1
	v_sub_f16_e32 v31, v23, v25
	v_sub_f16_sdwa v30, v23, v25 dst_sel:DWORD dst_unused:UNUSED_PAD src0_sel:WORD_1 src1_sel:WORD_1
	v_add_f16_e32 v27, v26, v0
	v_add_f16_sdwa v25, v26, v0 dst_sel:DWORD dst_unused:UNUSED_PAD src0_sel:WORD_1 src1_sel:WORD_1
	v_sub_f16_e32 v24, v0, v26
	v_sub_f16_sdwa v22, v0, v26 dst_sel:DWORD dst_unused:UNUSED_PAD src0_sel:WORD_1 src1_sel:WORD_1
	ds_read_b32 v23, v132 offset:9408
	ds_read2_b32 v[0:1], v187 offset0:76 offset1:125
	ds_read2_b32 v[42:43], v182 offset0:206 offset1:255
	;; [unrolled: 1-line block ×3, first 2 shown]
	s_waitcnt lgkmcnt(2)
	v_add_f16_e32 v29, v1, v23
	v_add_f16_sdwa v28, v1, v23 dst_sel:DWORD dst_unused:UNUSED_PAD src0_sel:WORD_1 src1_sel:WORD_1
	v_sub_f16_e32 v26, v1, v23
	v_sub_f16_sdwa v23, v1, v23 dst_sel:DWORD dst_unused:UNUSED_PAD src0_sel:WORD_1 src1_sel:WORD_1
	s_waitcnt lgkmcnt(1)
	v_add_f16_e32 v37, v0, v43
	v_add_f16_sdwa v36, v0, v43 dst_sel:DWORD dst_unused:UNUSED_PAD src0_sel:WORD_1 src1_sel:WORD_1
	v_sub_f16_e32 v35, v0, v43
	v_sub_f16_sdwa v34, v0, v43 dst_sel:DWORD dst_unused:UNUSED_PAD src0_sel:WORD_1 src1_sel:WORD_1
	ds_read2_b32 v[0:1], v191 offset0:106 offset1:155
	s_waitcnt lgkmcnt(0)
	v_add_f16_e32 v45, v1, v42
	v_add_f16_sdwa v44, v1, v42 dst_sel:DWORD dst_unused:UNUSED_PAD src0_sel:WORD_1 src1_sel:WORD_1
	v_sub_f16_e32 v43, v1, v42
	v_sub_f16_sdwa v42, v1, v42 dst_sel:DWORD dst_unused:UNUSED_PAD src0_sel:WORD_1 src1_sel:WORD_1
	v_add_f16_e32 v54, v0, v64
	v_add_f16_sdwa v53, v0, v64 dst_sel:DWORD dst_unused:UNUSED_PAD src0_sel:WORD_1 src1_sel:WORD_1
	v_sub_f16_e32 v51, v0, v64
	v_sub_f16_sdwa v50, v0, v64 dst_sel:DWORD dst_unused:UNUSED_PAD src0_sel:WORD_1 src1_sel:WORD_1
	ds_read2_b32 v[0:1], v193 offset0:136 offset1:185
	s_waitcnt lgkmcnt(0)
	v_add_f16_e32 v77, v1, v63
	v_add_f16_sdwa v80, v1, v63 dst_sel:DWORD dst_unused:UNUSED_PAD src0_sel:WORD_1 src1_sel:WORD_1
	v_sub_f16_e32 v83, v1, v63
	v_sub_f16_sdwa v84, v1, v63 dst_sel:DWORD dst_unused:UNUSED_PAD src0_sel:WORD_1 src1_sel:WORD_1
	ds_read2_b32 v[63:64], v182 offset0:10 offset1:59
	s_waitcnt lgkmcnt(0)
	;; [unrolled: 6-line block ×3, first 2 shown]
	v_add_f16_e32 v79, v1, v63
	v_add_f16_sdwa v87, v1, v63 dst_sel:DWORD dst_unused:UNUSED_PAD src0_sel:WORD_1 src1_sel:WORD_1
	v_sub_f16_e32 v88, v1, v63
	v_sub_f16_sdwa v1, v1, v63 dst_sel:DWORD dst_unused:UNUSED_PAD src0_sel:WORD_1 src1_sel:WORD_1
	v_add_f16_e32 v63, v62, v79
	v_sub_f16_e32 v89, v62, v79
	v_add_f16_e32 v62, v4, v87
	v_sub_f16_e32 v91, v4, v87
	v_sub_f16_e32 v79, v79, v65
	v_add_f16_e32 v65, v65, v63
	v_sub_f16_e32 v87, v87, v66
	v_add_f16_e32 v4, v66, v62
	v_add_f16_e32 v62, v67, v3
	v_sub_f16_e32 v66, v67, v3
	v_sub_f16_e32 v67, v88, v67
	;; [unrolled: 1-line block ×3, first 2 shown]
	v_add_f16_e32 v3, v68, v2
	v_add_f16_e32 v88, v62, v88
	ds_read2_b32 v[62:63], v132 offset1:49
	v_sub_f16_e32 v68, v1, v68
	v_sub_f16_e32 v95, v2, v1
	v_add_f16_e32 v96, v3, v1
	v_mul_f16_e32 v2, 0x3a52, v87
	v_mul_f16_e32 v66, 0xb846, v66
	;; [unrolled: 1-line block ×3, first 2 shown]
	v_fmac_f16_e32 v87, 0xb574, v68
	v_fmamk_f16 v68, v68, 0x3574, v94
	v_fmac_f16_e32 v87, 0x370e, v96
	v_fmac_f16_e32 v68, 0x370e, v96
	s_waitcnt lgkmcnt(0)
	v_add_f16_sdwa v97, v4, v62 dst_sel:DWORD dst_unused:UNUSED_PAD src0_sel:DWORD src1_sel:WORD_1
	v_add_f16_e32 v62, v65, v62
	v_lshlrev_b32_e32 v1, 16, v97
	v_fmac_f16_e32 v97, 0xbcab, v4
	v_or_b32_sdwa v98, v1, v62 dst_sel:DWORD dst_unused:UNUSED_PAD src0_sel:DWORD src1_sel:WORD_0
	v_mul_f16_e32 v1, 0x3a52, v79
	v_fmac_f16_e32 v62, 0xbcab, v65
	v_mul_f16_e32 v65, 0xbb00, v93
	v_mov_b32_e32 v79, 2
	v_fma_f16 v3, v89, 0xb9e0, -v1
	v_fmamk_f16 v1, v90, 0x2b26, v1
	v_fmac_f16_e32 v65, 0xb574, v67
	v_fmamk_f16 v67, v67, 0x3574, v66
	v_mul_f16_e32 v90, 0x2b26, v90
	v_add_f16_e32 v99, v3, v62
	v_fma_f16 v3, v91, 0xb9e0, -v2
	v_fmamk_f16 v2, v92, 0x2b26, v2
	v_mul_f16_e32 v92, 0x2b26, v92
	v_add_f16_e32 v102, v1, v62
	v_fmac_f16_e32 v67, 0x370e, v88
	v_fma_f16 v89, v89, 0x39e0, -v90
	v_add_f16_e32 v103, v2, v97
	v_fma_f16 v90, v95, 0x3b00, -v94
	v_fma_f16 v91, v91, 0x39e0, -v92
	;; [unrolled: 1-line block ×3, first 2 shown]
	v_add_f16_e32 v1, v102, v68
	v_sub_f16_e32 v2, v103, v67
	v_add_f16_e32 v62, v89, v62
	v_fmac_f16_e32 v90, 0x370e, v96
	v_add_f16_e32 v89, v91, v97
	v_fmac_f16_e32 v66, 0x370e, v88
	;; [unrolled: 2-line block ×3, first 2 shown]
	v_pack_b32_f16 v104, v1, v2
	v_mul_lo_u16 v1, v8, 7
	v_sub_f16_e32 v88, v62, v90
	v_add_f16_e32 v62, v90, v62
	v_sub_f16_e32 v90, v89, v66
	v_add_f16_e32 v66, v66, v89
	v_add_f16_e32 v3, v87, v99
	v_sub_f16_e32 v4, v100, v65
	v_lshlrev_b32_sdwa v200, v79, v1 dst_sel:DWORD dst_unused:UNUSED_PAD src0_sel:DWORD src1_sel:WORD_0
	v_pack_b32_f16 v62, v62, v90
	v_pack_b32_f16 v66, v88, v66
	v_add_f16_e32 v67, v67, v103
	v_pack_b32_f16 v101, v3, v4
	ds_read2_b32 v[3:4], v132 offset0:98 offset1:147
	ds_read2_b32 v[1:2], v132 offset0:196 offset1:245
	s_waitcnt lgkmcnt(0)
	s_barrier
	buffer_gl0_inv
	ds_write2_b32 v200, v66, v62 offset0:3 offset1:4
	v_sub_f16_e32 v62, v99, v87
	v_sub_f16_e32 v66, v102, v68
	v_add_f16_e32 v65, v65, v100
	v_sub_f16_e32 v68, v57, v85
	ds_write2_b32 v200, v104, v101 offset0:1 offset1:2
	ds_write_b32 v200, v98
	v_pack_b32_f16 v66, v66, v67
	v_pack_b32_f16 v62, v62, v65
	v_add_f16_e32 v67, v57, v85
	v_sub_f16_e32 v65, v59, v78
	v_sub_f16_e32 v57, v70, v57
	ds_write2_b32 v200, v62, v66 offset0:5 offset1:6
	v_add_f16_e32 v62, v59, v78
	v_sub_f16_e32 v66, v78, v69
	v_sub_f16_e32 v59, v69, v59
	v_add_f16_e32 v67, v70, v67
	v_sub_f16_e32 v78, v71, v55
	v_add_f16_e32 v62, v69, v62
	;; [unrolled: 2-line block ×3, first 2 shown]
	v_add_f16_e32 v85, v72, v52
	v_sub_f16_e32 v71, v86, v71
	v_sub_f16_e32 v55, v55, v86
	v_add_f16_e32 v70, v70, v86
	v_sub_f16_e32 v86, v72, v52
	v_sub_f16_e32 v72, v64, v72
	;; [unrolled: 1-line block ×3, first 2 shown]
	v_add_f16_e32 v64, v85, v64
	v_add_f16_sdwa v85, v67, v63 dst_sel:DWORD dst_unused:UNUSED_PAD src0_sel:DWORD src1_sel:WORD_1
	v_add_f16_e32 v63, v62, v63
	v_mul_f16_e32 v86, 0xb846, v86
	v_lshlrev_b32_e32 v87, 16, v85
	v_fmac_f16_e32 v85, 0xbcab, v67
	v_mul_f16_e32 v67, 0xbb00, v55
	v_or_b32_sdwa v87, v87, v63 dst_sel:DWORD dst_unused:UNUSED_PAD src0_sel:DWORD src1_sel:WORD_0
	v_fmac_f16_e32 v63, 0xbcab, v62
	v_mul_f16_e32 v62, 0x3a52, v66
	v_mul_f16_e32 v66, 0x3a52, v69
	v_mul_f16_e32 v69, 0xbb00, v52
	v_fmac_f16_e32 v67, 0xb574, v71
	v_fma_f16 v52, v52, 0x3b00, -v86
	v_fma_f16 v88, v65, 0xb9e0, -v62
	v_fma_f16 v89, v68, 0xb9e0, -v66
	v_fmac_f16_e32 v69, 0xb574, v72
	v_fmac_f16_e32 v67, 0x370e, v70
	v_fmamk_f16 v62, v59, 0x2b26, v62
	v_add_f16_e32 v88, v88, v63
	v_add_f16_e32 v89, v89, v85
	v_fmac_f16_e32 v69, 0x370e, v64
	v_fmamk_f16 v66, v57, 0x2b26, v66
	v_fmamk_f16 v72, v72, 0x3574, v86
	v_add_f16_e32 v62, v62, v63
	v_sub_f16_e32 v91, v89, v67
	v_add_f16_e32 v90, v69, v88
	v_add_f16_e32 v66, v66, v85
	v_fmac_f16_e32 v72, 0x370e, v64
	v_mul_f16_e32 v59, 0x2b26, v59
	v_mul_f16_e32 v57, 0x2b26, v57
	v_pack_b32_f16 v90, v90, v91
	v_mul_f16_e32 v91, 0xb846, v78
	v_add_f16_e32 v78, v62, v72
	v_fma_f16 v59, v65, 0x39e0, -v59
	v_fma_f16 v57, v68, 0x39e0, -v57
	v_fmac_f16_e32 v52, 0x370e, v64
	v_fmamk_f16 v71, v71, 0x3574, v91
	v_fma_f16 v55, v55, 0x3b00, -v91
	v_add_f16_e32 v59, v59, v63
	v_add_f16_e32 v57, v57, v85
	;; [unrolled: 1-line block ×3, first 2 shown]
	v_fmac_f16_e32 v71, 0x370e, v70
	v_fmac_f16_e32 v55, 0x370e, v70
	v_sub_f16_e32 v63, v59, v52
	v_add_f16_e32 v52, v52, v59
	v_sub_f16_e32 v65, v75, v58
	v_sub_f16_e32 v92, v66, v71
	;; [unrolled: 1-line block ×3, first 2 shown]
	v_add_f16_e32 v55, v55, v57
	v_add_f16_e32 v57, v71, v66
	v_sub_f16_e32 v58, v58, v83
	v_pack_b32_f16 v92, v78, v92
	v_add_co_u32 v78, null, v105, 49
	v_pack_b32_f16 v52, v52, v59
	v_pack_b32_f16 v55, v63, v55
	v_add_f16_e32 v59, v67, v89
	v_mul_u32_u24_e32 v93, 7, v78
	v_sub_f16_e32 v63, v80, v74
	v_add_f16_e32 v67, v76, v56
	v_sub_f16_e32 v68, v76, v56
	v_sub_f16_e32 v56, v56, v84
	v_lshlrev_b32_e32 v201, 2, v93
	v_sub_f16_e32 v66, v83, v75
	v_add_f16_e32 v64, v64, v83
	v_add_f16_e32 v67, v67, v84
	v_mul_f16_e32 v68, 0xb846, v68
	ds_write2_b32 v201, v55, v52 offset0:3 offset1:4
	v_sub_f16_e32 v52, v88, v69
	v_sub_f16_e32 v55, v62, v72
	;; [unrolled: 1-line block ×4, first 2 shown]
	v_mul_f16_e32 v65, 0xb846, v65
	v_pack_b32_f16 v52, v52, v59
	v_pack_b32_f16 v55, v55, v57
	v_sub_f16_e32 v59, v73, v61
	v_sub_f16_e32 v57, v77, v73
	ds_write2_b32 v201, v92, v90 offset0:1 offset1:2
	ds_write_b32 v201, v87
	ds_write2_b32 v201, v52, v55 offset0:5 offset1:6
	v_add_f16_e32 v52, v61, v77
	v_sub_f16_e32 v55, v61, v77
	v_add_f16_e32 v61, v60, v80
	v_sub_f16_e32 v60, v74, v60
	v_add_f16_e32 v52, v73, v52
	v_add_f16_e32 v61, v74, v61
	;; [unrolled: 1-line block ×3, first 2 shown]
	v_add_f16_sdwa v70, v61, v3 dst_sel:DWORD dst_unused:UNUSED_PAD src0_sel:DWORD src1_sel:WORD_1
	v_lshlrev_b32_e32 v3, 16, v70
	v_fmac_f16_e32 v70, 0xbcab, v61
	v_mul_f16_e32 v61, 0xbb00, v58
	v_fma_f16 v58, v58, 0x3b00, -v65
	v_or_b32_sdwa v3, v3, v71 dst_sel:DWORD dst_unused:UNUSED_PAD src0_sel:DWORD src1_sel:WORD_0
	v_fmac_f16_e32 v71, 0xbcab, v52
	v_mul_f16_e32 v52, 0x3a52, v57
	v_mul_f16_e32 v57, 0x3a52, v63
	;; [unrolled: 1-line block ×3, first 2 shown]
	v_fmac_f16_e32 v61, 0xb574, v66
	v_fmamk_f16 v66, v66, 0x3574, v65
	v_fma_f16 v72, v55, 0xb9e0, -v52
	v_fma_f16 v73, v62, 0xb9e0, -v57
	v_fmac_f16_e32 v63, 0xb574, v69
	v_fmac_f16_e32 v61, 0x370e, v64
	v_fmamk_f16 v52, v59, 0x2b26, v52
	v_add_f16_e32 v72, v72, v71
	v_add_f16_e32 v73, v73, v70
	v_fmac_f16_e32 v63, 0x370e, v67
	v_fmamk_f16 v57, v60, 0x2b26, v57
	v_fmamk_f16 v69, v69, 0x3574, v68
	v_mul_f16_e32 v59, 0x2b26, v59
	v_sub_f16_e32 v75, v73, v61
	v_add_f16_e32 v74, v63, v72
	v_add_f16_e32 v57, v57, v70
	v_fmac_f16_e32 v69, 0x370e, v67
	v_fmac_f16_e32 v66, 0x370e, v64
	v_fma_f16 v55, v55, 0x39e0, -v59
	v_pack_b32_f16 v74, v74, v75
	v_add_f16_e32 v75, v52, v71
	v_mul_f16_e32 v59, 0x2b26, v60
	v_sub_f16_e32 v76, v57, v66
	v_fma_f16 v56, v56, 0x3b00, -v68
	v_add_f16_e32 v55, v55, v71
	v_add_f16_e32 v52, v75, v69
	v_fma_f16 v59, v62, 0x39e0, -v59
	v_fmac_f16_e32 v58, 0x370e, v64
	v_fmac_f16_e32 v56, 0x370e, v67
	v_add_f16_e32 v57, v66, v57
	v_pack_b32_f16 v76, v52, v76
	v_add_co_u32 v52, null, 0x62, v105
	v_add_f16_e32 v59, v59, v70
	v_sub_f16_e32 v60, v55, v56
	v_add_f16_e32 v55, v56, v55
	v_mul_u32_u24_e32 v77, 7, v52
	v_sub_f16_e32 v56, v59, v58
	v_add_f16_e32 v58, v58, v59
	v_sub_f16_e32 v59, v46, v5
	v_lshlrev_b32_e32 v202, 2, v77
	v_pack_b32_f16 v55, v55, v56
	v_pack_b32_f16 v56, v60, v58
	v_add_f16_e32 v58, v61, v73
	ds_write_b32 v202, v3
	v_mul_f16_e32 v59, 0xb846, v59
	ds_write2_b32 v202, v76, v74 offset0:1 offset1:2
	ds_write2_b32 v202, v56, v55 offset0:3 offset1:4
	v_sub_f16_e32 v55, v72, v63
	v_sub_f16_e32 v56, v75, v69
	v_mov_b32_e32 v73, 49
	v_pack_b32_f16 v55, v55, v58
	v_pack_b32_f16 v56, v56, v57
	v_sub_f16_e32 v57, v14, v53
	v_sub_f16_e32 v58, v47, v10
	ds_write2_b32 v202, v55, v56 offset0:5 offset1:6
	v_add_f16_e32 v55, v18, v54
	v_sub_f16_e32 v56, v18, v54
	v_sub_f16_e32 v54, v54, v49
	;; [unrolled: 1-line block ×3, first 2 shown]
	v_mul_f16_e32 v58, 0xb846, v58
	v_add_f16_e32 v49, v49, v55
	v_add_f16_e32 v55, v14, v53
	v_sub_f16_e32 v53, v53, v48
	v_sub_f16_e32 v14, v48, v14
	v_mul_f16_e32 v3, 0x3a52, v54
	v_add_f16_e32 v48, v48, v55
	v_add_f16_e32 v55, v47, v10
	v_sub_f16_e32 v47, v51, v47
	v_sub_f16_e32 v10, v10, v51
	v_add_f16_e32 v51, v55, v51
	v_add_f16_e32 v55, v46, v5
	v_sub_f16_e32 v46, v50, v46
	v_sub_f16_e32 v5, v5, v50
	v_add_f16_e32 v50, v55, v50
	v_add_f16_sdwa v55, v48, v4 dst_sel:DWORD dst_unused:UNUSED_PAD src0_sel:DWORD src1_sel:WORD_1
	v_add_f16_e32 v4, v49, v4
	v_mul_f16_e32 v54, 0xbb00, v5
	v_fma_f16 v5, v5, 0x3b00, -v59
	v_lshlrev_b32_e32 v60, 16, v55
	v_fmac_f16_e32 v55, 0xbcab, v48
	v_mul_f16_e32 v48, 0x3a52, v53
	v_fma_f16 v53, v56, 0xb9e0, -v3
	v_fmac_f16_e32 v54, 0xb574, v46
	v_or_b32_sdwa v60, v60, v4 dst_sel:DWORD dst_unused:UNUSED_PAD src0_sel:DWORD src1_sel:WORD_0
	v_fmac_f16_e32 v4, 0xbcab, v49
	v_mul_f16_e32 v49, 0xbb00, v10
	v_fmamk_f16 v3, v18, 0x2b26, v3
	v_fmac_f16_e32 v54, 0x370e, v50
	v_fmamk_f16 v46, v46, 0x3574, v59
	v_add_f16_e32 v61, v53, v4
	v_fmac_f16_e32 v49, 0xb574, v47
	v_fma_f16 v53, v57, 0xb9e0, -v48
	v_fmamk_f16 v48, v14, 0x2b26, v48
	v_fmamk_f16 v47, v47, 0x3574, v58
	v_add_f16_e32 v3, v3, v4
	v_fmac_f16_e32 v49, 0x370e, v51
	v_add_f16_e32 v62, v53, v55
	v_add_f16_e32 v53, v54, v61
	;; [unrolled: 1-line block ×3, first 2 shown]
	v_fmac_f16_e32 v46, 0x370e, v50
	v_fmac_f16_e32 v47, 0x370e, v51
	v_sub_f16_e32 v63, v62, v49
	v_mul_f16_e32 v18, 0x2b26, v18
	v_mul_f16_e32 v14, 0x2b26, v14
	v_fma_f16 v10, v10, 0x3b00, -v58
	v_sub_f16_e32 v64, v48, v47
	v_pack_b32_f16 v63, v53, v63
	v_add_f16_e32 v53, v3, v46
	v_fma_f16 v18, v56, 0x39e0, -v18
	v_fma_f16 v14, v57, 0x39e0, -v14
	v_fmac_f16_e32 v5, 0x370e, v50
	v_fmac_f16_e32 v10, 0x370e, v51
	v_pack_b32_f16 v64, v53, v64
	v_add_co_u32 v53, null, 0x93, v105
	v_add_f16_e32 v4, v18, v4
	v_add_f16_e32 v14, v14, v55
	v_sub_f16_e32 v3, v3, v46
	v_mul_u32_u24_e32 v65, 7, v53
	v_add_co_u32 v55, null, 0xf5, v105
	v_sub_f16_e32 v18, v4, v5
	v_add_f16_e32 v4, v5, v4
	v_sub_f16_e32 v5, v14, v10
	v_add_f16_e32 v10, v10, v14
	v_lshlrev_b32_e32 v206, 2, v65
	v_add_f16_e32 v14, v15, v44
	v_add_co_u32 v56, null, 0x126, v105
	v_pack_b32_f16 v4, v4, v5
	v_pack_b32_f16 v5, v18, v10
	v_add_f16_e32 v10, v49, v62
	v_sub_f16_e32 v18, v15, v44
	v_sub_f16_e32 v15, v40, v15
	v_add_f16_e32 v14, v40, v14
	ds_write2_b32 v206, v5, v4 offset0:3 offset1:4
	v_sub_f16_e32 v4, v61, v54
	v_add_f16_e32 v5, v47, v48
	v_add_co_u32 v54, null, 0xc4, v105
	ds_write2_b32 v206, v64, v63 offset0:1 offset1:2
	v_pack_b32_f16 v4, v4, v10
	v_pack_b32_f16 v3, v3, v5
	v_sub_f16_e32 v10, v41, v19
	v_sub_f16_e32 v5, v45, v41
	ds_write_b32 v206, v60
	v_and_b32_e32 v58, 0xff, v52
	ds_write2_b32 v206, v4, v3 offset0:5 offset1:6
	v_add_f16_e32 v3, v19, v45
	v_sub_f16_e32 v4, v19, v45
	v_sub_f16_e32 v19, v44, v40
	v_add_f16_e32 v40, v39, v11
	v_sub_f16_e32 v44, v38, v6
	v_add_f16_e32 v3, v41, v3
	v_sub_f16_e32 v41, v39, v11
	v_sub_f16_e32 v39, v43, v39
	;; [unrolled: 1-line block ×3, first 2 shown]
	v_add_f16_e32 v40, v40, v43
	v_add_f16_e32 v43, v38, v6
	v_sub_f16_e32 v38, v42, v38
	v_sub_f16_e32 v6, v6, v42
	v_mul_f16_e32 v44, 0xb846, v44
	v_mul_f16_e32 v41, 0xb846, v41
	v_add_f16_e32 v42, v43, v42
	v_add_f16_sdwa v43, v14, v1 dst_sel:DWORD dst_unused:UNUSED_PAD src0_sel:DWORD src1_sel:WORD_1
	v_add_f16_e32 v1, v3, v1
	v_and_b32_e32 v59, 0xff, v53
	v_and_b32_e32 v57, 0xff, v54
	v_lshlrev_b32_e32 v45, 16, v43
	v_fmac_f16_e32 v43, 0xbcab, v14
	v_mul_f16_e32 v14, 0xbb00, v11
	v_fma_f16 v11, v11, 0x3b00, -v41
	v_or_b32_sdwa v45, v45, v1 dst_sel:DWORD dst_unused:UNUSED_PAD src0_sel:DWORD src1_sel:WORD_0
	v_fmac_f16_e32 v1, 0xbcab, v3
	v_mul_f16_e32 v3, 0x3a52, v5
	v_mul_f16_e32 v5, 0x3a52, v19
	;; [unrolled: 1-line block ×3, first 2 shown]
	v_fmac_f16_e32 v14, 0xb574, v39
	v_fmamk_f16 v39, v39, 0x3574, v41
	v_fma_f16 v46, v4, 0xb9e0, -v3
	v_fma_f16 v47, v18, 0xb9e0, -v5
	v_fmac_f16_e32 v19, 0xb574, v38
	v_fmamk_f16 v3, v10, 0x2b26, v3
	v_mul_f16_e32 v10, 0x2b26, v10
	v_add_f16_e32 v46, v46, v1
	v_add_f16_e32 v47, v47, v43
	v_fmac_f16_e32 v19, 0x370e, v42
	v_fmac_f16_e32 v14, 0x370e, v40
	v_fmamk_f16 v5, v15, 0x2b26, v5
	v_fmamk_f16 v38, v38, 0x3574, v44
	v_fma_f16 v4, v4, 0x39e0, -v10
	v_mul_f16_e32 v10, 0x2b26, v15
	v_add_f16_e32 v48, v19, v46
	v_sub_f16_e32 v49, v47, v14
	v_add_f16_e32 v3, v3, v1
	v_add_f16_e32 v5, v5, v43
	v_fmac_f16_e32 v38, 0x370e, v42
	v_fmac_f16_e32 v39, 0x370e, v40
	v_fma_f16 v6, v6, 0x3b00, -v44
	v_fma_f16 v10, v18, 0x39e0, -v10
	v_pack_b32_f16 v48, v48, v49
	v_add_f16_e32 v49, v3, v38
	v_sub_f16_e32 v50, v5, v39
	v_add_f16_e32 v1, v4, v1
	v_fmac_f16_e32 v6, 0x370e, v42
	v_add_f16_e32 v4, v10, v43
	v_fmac_f16_e32 v11, 0x370e, v40
	v_pack_b32_f16 v49, v49, v50
	v_mul_u32_u24_e32 v50, 7, v54
	v_sub_f16_e32 v10, v1, v6
	v_add_f16_e32 v1, v6, v1
	v_sub_f16_e32 v6, v4, v11
	v_add_f16_e32 v4, v11, v4
	v_lshlrev_b32_e32 v207, 2, v50
	v_sub_f16_e32 v3, v3, v38
	v_add_f16_e32 v15, v31, v12
	v_pack_b32_f16 v1, v1, v6
	v_pack_b32_f16 v4, v10, v4
	v_add_f16_e32 v6, v16, v36
	v_sub_f16_e32 v10, v16, v36
	v_sub_f16_e32 v18, v35, v31
	;; [unrolled: 1-line block ×3, first 2 shown]
	ds_write2_b32 v207, v4, v1 offset0:3 offset1:4
	v_sub_f16_e32 v1, v46, v19
	v_add_f16_e32 v4, v39, v5
	v_add_f16_e32 v5, v14, v47
	;; [unrolled: 1-line block ×3, first 2 shown]
	v_sub_f16_e32 v14, v32, v16
	v_sub_f16_e32 v16, v31, v12
	v_pack_b32_f16 v3, v3, v4
	v_pack_b32_f16 v1, v1, v5
	v_add_f16_sdwa v31, v6, v2 dst_sel:DWORD dst_unused:UNUSED_PAD src0_sel:DWORD src1_sel:WORD_1
	v_sub_f16_e32 v4, v37, v33
	v_sub_f16_e32 v5, v33, v20
	;; [unrolled: 1-line block ×3, first 2 shown]
	ds_write2_b32 v207, v1, v3 offset0:5 offset1:6
	v_add_f16_e32 v1, v20, v37
	v_sub_f16_e32 v3, v20, v37
	v_add_f16_e32 v19, v30, v7
	v_sub_f16_e32 v20, v30, v7
	v_sub_f16_e32 v7, v7, v34
	v_add_f16_e32 v1, v33, v1
	v_lshlrev_b32_e32 v32, 16, v31
	v_sub_f16_e32 v30, v34, v30
	v_fmac_f16_e32 v31, 0xbcab, v6
	v_mul_f16_e32 v6, 0xbb00, v12
	v_add_f16_e32 v2, v1, v2
	v_add_f16_e32 v15, v15, v35
	v_add_f16_e32 v19, v19, v34
	v_mul_f16_e32 v20, 0xb846, v20
	v_fmac_f16_e32 v6, 0xb574, v18
	v_or_b32_sdwa v32, v32, v2 dst_sel:DWORD dst_unused:UNUSED_PAD src0_sel:DWORD src1_sel:WORD_0
	v_fmac_f16_e32 v2, 0xbcab, v1
	v_mul_f16_e32 v1, 0x3a52, v4
	v_mul_f16_e32 v4, 0x3a52, v11
	v_mul_f16_e32 v11, 0xbb00, v7
	v_mul_f16_e32 v16, 0xb846, v16
	v_fmac_f16_e32 v6, 0x370e, v15
	v_fma_f16 v33, v3, 0xb9e0, -v1
	v_fma_f16 v34, v10, 0xb9e0, -v4
	v_fmac_f16_e32 v11, 0xb574, v30
	v_fmamk_f16 v1, v5, 0x2b26, v1
	v_mul_f16_e32 v5, 0x2b26, v5
	v_add_f16_e32 v33, v33, v2
	v_add_f16_e32 v34, v34, v31
	v_fmac_f16_e32 v11, 0x370e, v19
	v_fmamk_f16 v4, v14, 0x2b26, v4
	v_fmamk_f16 v30, v30, 0x3574, v20
	;; [unrolled: 1-line block ×3, first 2 shown]
	v_fma_f16 v3, v3, 0x39e0, -v5
	v_fma_f16 v5, v7, 0x3b00, -v20
	v_mul_f16_e32 v7, 0x2b26, v14
	v_add_f16_e32 v35, v11, v33
	v_sub_f16_e32 v36, v34, v6
	v_add_f16_e32 v1, v1, v2
	v_add_f16_e32 v4, v4, v31
	v_fmac_f16_e32 v30, 0x370e, v19
	v_fmac_f16_e32 v18, 0x370e, v15
	v_fma_f16 v7, v10, 0x39e0, -v7
	v_fma_f16 v10, v12, 0x3b00, -v16
	v_pack_b32_f16 v35, v35, v36
	v_add_f16_e32 v36, v1, v30
	v_sub_f16_e32 v37, v4, v18
	v_add_f16_e32 v2, v3, v2
	v_fmac_f16_e32 v5, 0x370e, v19
	v_add_f16_e32 v3, v7, v31
	v_fmac_f16_e32 v10, 0x370e, v15
	v_pack_b32_f16 v36, v36, v37
	v_mul_u32_u24_e32 v37, 7, v55
	v_sub_f16_e32 v7, v2, v5
	v_add_f16_e32 v2, v5, v2
	v_sub_f16_e32 v5, v3, v10
	v_add_f16_e32 v3, v10, v3
	v_lshlrev_b32_e32 v208, 2, v37
	ds_write2_b32 v207, v49, v48 offset0:1 offset1:2
	ds_write_b32 v207, v45
	v_pack_b32_f16 v2, v2, v5
	v_pack_b32_f16 v3, v7, v3
	v_sub_f16_e32 v1, v1, v30
	v_add_f16_e32 v5, v17, v28
	v_sub_f16_e32 v7, v28, v25
	v_sub_f16_e32 v12, v24, v13
	ds_write2_b32 v208, v3, v2 offset0:3 offset1:4
	v_sub_f16_e32 v2, v33, v11
	v_add_f16_e32 v3, v18, v4
	v_add_f16_e32 v4, v6, v34
	;; [unrolled: 1-line block ×4, first 2 shown]
	v_sub_f16_e32 v13, v13, v26
	v_pack_b32_f16 v1, v1, v3
	v_pack_b32_f16 v2, v2, v4
	v_add_f16_sdwa v18, v5, v0 dst_sel:DWORD dst_unused:UNUSED_PAD src0_sel:DWORD src1_sel:WORD_1
	v_sub_f16_e32 v3, v29, v27
	v_add_f16_e32 v15, v22, v9
	v_sub_f16_e32 v16, v22, v9
	ds_write2_b32 v208, v2, v1 offset0:5 offset1:6
	v_add_f16_e32 v1, v21, v29
	v_sub_f16_e32 v9, v9, v23
	v_lshlrev_b32_e32 v19, 16, v18
	v_sub_f16_e32 v2, v21, v29
	v_sub_f16_e32 v4, v27, v21
	v_add_f16_e32 v1, v27, v1
	v_sub_f16_e32 v6, v17, v28
	v_sub_f16_e32 v10, v25, v17
	;; [unrolled: 1-line block ×4, first 2 shown]
	v_add_f16_e32 v0, v1, v0
	v_fmac_f16_e32 v18, 0xbcab, v5
	v_mul_f16_e32 v5, 0xbb00, v13
	v_add_f16_e32 v11, v11, v26
	v_add_f16_e32 v15, v15, v23
	v_or_b32_sdwa v19, v19, v0 dst_sel:DWORD dst_unused:UNUSED_PAD src0_sel:DWORD src1_sel:WORD_0
	v_fmac_f16_e32 v0, 0xbcab, v1
	v_mul_f16_e32 v1, 0x3a52, v3
	v_mul_f16_e32 v3, 0x3a52, v7
	;; [unrolled: 1-line block ×3, first 2 shown]
	v_fmac_f16_e32 v5, 0xb574, v14
	v_mul_f16_e32 v16, 0xb846, v16
	v_fma_f16 v20, v2, 0xb9e0, -v1
	v_fma_f16 v21, v6, 0xb9e0, -v3
	v_fmac_f16_e32 v7, 0xb574, v17
	v_mul_f16_e32 v12, 0xb846, v12
	v_fmamk_f16 v1, v4, 0x2b26, v1
	v_mul_f16_e32 v4, 0x2b26, v4
	v_add_f16_e32 v20, v20, v0
	v_add_f16_e32 v21, v21, v18
	v_fmac_f16_e32 v7, 0x370e, v15
	v_fmac_f16_e32 v5, 0x370e, v11
	v_fmamk_f16 v3, v10, 0x2b26, v3
	v_fmamk_f16 v17, v17, 0x3574, v16
	;; [unrolled: 1-line block ×3, first 2 shown]
	v_fma_f16 v2, v2, 0x39e0, -v4
	v_fma_f16 v4, v9, 0x3b00, -v16
	v_mul_f16_e32 v9, 0x2b26, v10
	v_add_f16_e32 v22, v7, v20
	v_sub_f16_e32 v23, v21, v5
	v_add_f16_e32 v1, v1, v0
	v_add_f16_e32 v3, v3, v18
	v_fmac_f16_e32 v17, 0x370e, v15
	v_fmac_f16_e32 v14, 0x370e, v11
	v_fma_f16 v6, v6, 0x39e0, -v9
	v_fma_f16 v9, v13, 0x3b00, -v12
	v_pack_b32_f16 v22, v22, v23
	v_add_f16_e32 v23, v1, v17
	v_sub_f16_e32 v24, v3, v14
	v_add_f16_e32 v0, v2, v0
	v_fmac_f16_e32 v4, 0x370e, v15
	v_add_f16_e32 v2, v6, v18
	v_fmac_f16_e32 v9, 0x370e, v11
	v_pack_b32_f16 v23, v23, v24
	v_mul_u32_u24_e32 v24, 7, v56
	v_sub_f16_e32 v6, v0, v4
	v_add_f16_e32 v0, v4, v0
	v_sub_f16_e32 v4, v2, v9
	v_add_f16_e32 v2, v9, v2
	v_lshlrev_b32_e32 v209, 2, v24
	ds_write2_b32 v208, v36, v35 offset0:1 offset1:2
	ds_write_b32 v208, v32
	v_pack_b32_f16 v0, v0, v4
	v_pack_b32_f16 v2, v6, v2
	v_sub_f16_e32 v1, v1, v17
	v_mov_b32_e32 v27, v105
	ds_write2_b32 v209, v23, v22 offset0:1 offset1:2
	ds_write_b32 v209, v19
	ds_write2_b32 v209, v2, v0 offset0:3 offset1:4
	v_sub_f16_e32 v0, v20, v7
	v_add_f16_e32 v2, v14, v3
	v_add_f16_e32 v3, v5, v21
	buffer_store_dword v27, off, s[20:23], 0 offset:184 ; 4-byte Folded Spill
	v_pack_b32_f16 v1, v1, v2
	v_pack_b32_f16 v0, v0, v3
	ds_write2_b32 v209, v0, v1 offset0:5 offset1:6
	v_and_b32_e32 v0, 0xff, v8
	s_waitcnt lgkmcnt(0)
	s_waitcnt_vscnt null, 0x0
	s_barrier
	buffer_gl0_inv
	ds_read2_b32 v[4:5], v193 offset0:38 offset1:87
	v_mul_lo_u16 v0, v0, 37
	v_lshrrev_b16 v0, 8, v0
	v_sub_nc_u16 v1, v8, v0
	v_lshrrev_b16 v1, 1, v1
	s_waitcnt lgkmcnt(0)
	v_lshrrev_b32_e32 v6, 16, v5
	v_and_b32_e32 v1, 0x7f, v1
	v_add_nc_u16 v0, v1, v0
	v_and_b32_e32 v1, 0xff, v78
	v_lshrrev_b16 v14, 2, v0
	v_mul_lo_u16 v1, v1, 37
	v_mul_lo_u16 v0, v14, 7
	v_lshrrev_b16 v1, 8, v1
	v_sub_nc_u16 v0, v8, v0
	v_sub_nc_u16 v2, v78, v1
	v_and_b32_e32 v21, 0xff, v0
	v_lshrrev_b16 v2, 1, v2
	v_mul_u32_u24_e32 v0, 6, v21
	v_and_b32_e32 v2, 0x7f, v2
	v_lshlrev_b32_e32 v0, 2, v0
	s_clause 0x1
	global_load_dwordx2 v[179:180], v0, s[2:3] offset:16
	global_load_dwordx4 v[151:154], v0, s[2:3]
	ds_read2_b32 v[7:8], v182 offset0:10 offset1:59
	v_add_nc_u16 v15, v2, v1
	v_mul_lo_u16 v1, v58, 37
	v_lshrrev_b16 v129, 2, v15
	v_lshrrev_b16 v1, 8, v1
	v_sub_nc_u16 v2, v52, v1
	v_lshrrev_b16 v2, 1, v2
	s_waitcnt lgkmcnt(0)
	v_lshrrev_b32_e32 v10, 16, v7
	v_and_b32_e32 v2, 0x7f, v2
	v_add_nc_u16 v16, v2, v1
	v_mul_lo_u16 v1, v59, 37
	v_lshrrev_b16 v130, 2, v16
	v_lshrrev_b16 v1, 8, v1
	v_sub_nc_u16 v2, v53, v1
	v_lshrrev_b16 v2, 1, v2
	v_and_b32_e32 v2, 0x7f, v2
	v_add_nc_u16 v19, v2, v1
	v_mul_lo_u16 v1, v57, 37
	v_lshrrev_b16 v133, 2, v19
	v_lshrrev_b16 v1, 8, v1
	v_sub_nc_u16 v2, v54, v1
	v_lshrrev_b16 v2, 1, v2
	v_and_b32_e32 v2, 0x7f, v2
	v_add_nc_u16 v20, v2, v1
	v_mov_b32_e32 v1, 0x2493
	v_lshrrev_b16 v75, 2, v20
	v_mul_u32_u24_sdwa v2, v55, v1 dst_sel:DWORD dst_unused:UNUSED_PAD src0_sel:WORD_0 src1_sel:DWORD
	v_mul_u32_u24_sdwa v1, v56, v1 dst_sel:DWORD dst_unused:UNUSED_PAD src0_sel:WORD_0 src1_sel:DWORD
	v_lshrrev_b32_e32 v2, 16, v2
	v_lshrrev_b32_e32 v1, 16, v1
	v_sub_nc_u16 v3, v55, v2
	v_lshrrev_b16 v3, 1, v3
	v_add_nc_u16 v17, v3, v2
	v_sub_nc_u16 v2, v56, v1
	v_lshrrev_b16 v71, 2, v17
	v_lshrrev_b16 v2, 1, v2
	v_add_nc_u16 v18, v2, v1
	s_waitcnt vmcnt(1)
	v_mul_f16_sdwa v11, v7, v180 dst_sel:DWORD dst_unused:UNUSED_PAD src0_sel:DWORD src1_sel:WORD_1
	s_waitcnt vmcnt(0)
	v_mul_f16_sdwa v9, v5, v151 dst_sel:DWORD dst_unused:UNUSED_PAD src0_sel:DWORD src1_sel:WORD_1
	v_fmac_f16_e32 v11, v10, v180
	v_fmac_f16_e32 v9, v6, v151
	v_mul_f16_sdwa v6, v6, v151 dst_sel:DWORD dst_unused:UNUSED_PAD src0_sel:DWORD src1_sel:WORD_1
	v_mul_f16_sdwa v10, v10, v180 dst_sel:DWORD dst_unused:UNUSED_PAD src0_sel:DWORD src1_sel:WORD_1
	v_add_f16_e32 v62, v9, v11
	v_fma_f16 v5, v5, v151, -v6
	v_fma_f16 v6, v7, v180, -v10
	v_sub_f16_e32 v63, v9, v11
	ds_read2_b32 v[9:10], v187 offset0:174 offset1:223
	v_add_f16_e32 v61, v5, v6
	v_sub_f16_e32 v60, v5, v6
	s_waitcnt lgkmcnt(0)
	v_lshrrev_b32_e32 v5, 16, v9
	v_mul_f16_sdwa v7, v9, v152 dst_sel:DWORD dst_unused:UNUSED_PAD src0_sel:DWORD src1_sel:WORD_1
	v_mul_f16_sdwa v11, v5, v152 dst_sel:DWORD dst_unused:UNUSED_PAD src0_sel:DWORD src1_sel:WORD_1
	v_fmac_f16_e32 v7, v5, v152
	ds_read2_b32 v[5:6], v192 offset0:130 offset1:179
	v_fma_f16 v9, v9, v152, -v11
	s_waitcnt lgkmcnt(0)
	v_lshrrev_b32_e32 v12, 16, v6
	v_mul_f16_sdwa v13, v6, v179 dst_sel:DWORD dst_unused:UNUSED_PAD src0_sel:DWORD src1_sel:WORD_1
	v_fmac_f16_e32 v13, v12, v179
	v_mul_f16_sdwa v12, v12, v179 dst_sel:DWORD dst_unused:UNUSED_PAD src0_sel:DWORD src1_sel:WORD_1
	v_add_f16_e32 v65, v7, v13
	v_fma_f16 v6, v6, v179, -v12
	v_sub_f16_e32 v66, v7, v13
	ds_read2_b32 v[12:13], v184 offset0:92 offset1:141
	v_add_f16_e32 v64, v9, v6
	v_sub_f16_e32 v9, v9, v6
	ds_read2_b32 v[6:7], v137 offset0:84 offset1:133
	s_waitcnt lgkmcnt(1)
	v_lshrrev_b32_e32 v22, 16, v12
	v_mul_f16_sdwa v26, v12, v154 dst_sel:DWORD dst_unused:UNUSED_PAD src0_sel:DWORD src1_sel:WORD_1
	s_waitcnt lgkmcnt(0)
	v_lshrrev_b32_e32 v11, 16, v7
	v_mul_f16_sdwa v25, v7, v153 dst_sel:DWORD dst_unused:UNUSED_PAD src0_sel:DWORD src1_sel:WORD_1
	v_fmac_f16_e32 v26, v22, v154
	v_mul_f16_sdwa v22, v22, v154 dst_sel:DWORD dst_unused:UNUSED_PAD src0_sel:DWORD src1_sel:WORD_1
	v_fmac_f16_e32 v25, v11, v153
	v_mul_f16_sdwa v11, v11, v153 dst_sel:DWORD dst_unused:UNUSED_PAD src0_sel:DWORD src1_sel:WORD_1
	v_add_f16_e32 v24, v25, v26
	v_fma_f16 v7, v7, v153, -v11
	v_fma_f16 v11, v12, v154, -v22
	v_sub_f16_e32 v115, v24, v65
	v_add_f16_e32 v23, v7, v11
	v_sub_f16_e32 v22, v11, v7
	v_add_f16_e32 v11, v65, v62
	v_sub_f16_e32 v7, v26, v25
	v_sub_f16_e32 v80, v23, v64
	;; [unrolled: 1-line block ×3, first 2 shown]
	v_add_f16_e32 v25, v24, v11
	v_add_f16_e32 v11, v64, v61
	v_sub_f16_e32 v117, v63, v7
	v_add_f16_e32 v26, v23, v11
	ds_read2_b32 v[11:12], v132 offset1:49
	s_waitcnt lgkmcnt(0)
	v_add_f16_sdwa v67, v25, v11 dst_sel:DWORD dst_unused:UNUSED_PAD src0_sel:DWORD src1_sel:WORD_1
	v_add_f16_e32 v68, v26, v11
	v_lshlrev_b32_e32 v11, 16, v67
	v_fmac_f16_e32 v67, 0xbcab, v25
	v_or_b32_sdwa v70, v11, v68 dst_sel:DWORD dst_unused:UNUSED_PAD src0_sel:DWORD src1_sel:WORD_0
	v_mul_u32_u24_sdwa v11, v14, v73 dst_sel:DWORD dst_unused:UNUSED_PAD src0_sel:WORD_0 src1_sel:DWORD
	v_sub_f16_e32 v14, v62, v24
	v_sub_f16_e32 v24, v7, v66
	v_fmac_f16_e32 v68, 0xbcab, v26
	v_sub_f16_e32 v62, v65, v62
	v_add_lshl_u32 v204, v11, v21, 2
	v_sub_f16_e32 v11, v61, v23
	v_sub_f16_e32 v23, v22, v9
	v_add_f16_e32 v21, v22, v9
	v_add_f16_e32 v22, v7, v66
	v_mul_f16_e32 v119, 0x3a52, v14
	v_mul_f16_e32 v118, 0x3a52, v11
	;; [unrolled: 1-line block ×4, first 2 shown]
	v_add_f16_e32 v120, v21, v60
	v_add_f16_e32 v122, v22, v63
	v_fmamk_f16 v7, v80, 0x2b26, v118
	v_fmamk_f16 v126, v117, 0x3574, v121
	;; [unrolled: 1-line block ×3, first 2 shown]
	v_sub_f16_e32 v9, v9, v60
	v_sub_f16_e32 v60, v66, v63
	v_add_f16_e32 v124, v7, v68
	v_fmamk_f16 v7, v115, 0x2b26, v119
	v_fmac_f16_e32 v126, 0x370e, v122
	v_fmac_f16_e32 v127, 0x370e, v120
	v_sub_f16_e32 v61, v64, v61
	v_mul_f16_e32 v63, 0x2b26, v80
	v_add_f16_e32 v125, v7, v67
	v_add_f16_e32 v7, v126, v124
	v_mul_f16_e32 v64, 0x2b26, v115
	v_fma_f16 v65, v9, 0x3b00, -v123
	v_mul_f16_e32 v9, 0xbb00, v9
	v_sub_f16_e32 v11, v125, v127
	v_fma_f16 v66, v60, 0x3b00, -v121
	v_mul_f16_e32 v60, 0xbb00, v60
	v_fma_f16 v63, v61, 0x39e0, -v63
	v_fma_f16 v61, v61, 0xb9e0, -v118
	v_pack_b32_f16 v128, v7, v11
	v_mul_lo_u16 v7, v129, 7
	v_mul_lo_u16 v11, v133, 7
	v_fma_f16 v64, v62, 0x39e0, -v64
	v_fma_f16 v62, v62, 0xb9e0, -v119
	v_fmac_f16_e32 v9, 0xb574, v116
	v_sub_nc_u16 v7, v78, v7
	v_sub_nc_u16 v11, v53, v11
	v_fmac_f16_e32 v60, 0xb574, v117
	v_add_f16_e32 v61, v61, v68
	v_add_f16_e32 v62, v62, v67
	v_and_b32_e32 v131, 0xff, v7
	v_mul_lo_u16 v7, v130, 7
	v_and_b32_e32 v135, 0xff, v11
	v_fmac_f16_e32 v9, 0x370e, v120
	v_fmac_f16_e32 v60, 0x370e, v122
	v_mul_u32_u24_e32 v14, 6, v131
	v_sub_nc_u16 v7, v52, v7
	v_add_f16_e32 v63, v63, v68
	v_add_f16_e32 v64, v64, v67
	v_fmac_f16_e32 v65, 0x370e, v120
	v_lshlrev_b32_e32 v16, 2, v14
	v_and_b32_e32 v134, 0xff, v7
	v_mul_lo_u16 v7, v75, 7
	v_fmac_f16_e32 v66, 0x370e, v122
	v_add_f16_e32 v67, v60, v61
	v_sub_f16_e32 v68, v62, v9
	v_mul_u32_u24_e32 v11, 6, v134
	v_sub_nc_u16 v7, v54, v7
	v_sub_f16_e32 v60, v61, v60
	v_add_f16_e32 v9, v9, v62
	v_pack_b32_f16 v67, v67, v68
	v_lshlrev_b32_e32 v19, 2, v11
	v_and_b32_e32 v74, 0xff, v7
	v_mul_u32_u24_e32 v7, 6, v135
	v_mul_lo_u16 v11, v71, 7
	v_sub_f16_e32 v68, v63, v66
	v_add_f16_e32 v63, v66, v63
	v_pack_b32_f16 v9, v60, v9
	v_lshlrev_b32_e32 v20, 2, v7
	v_mul_u32_u24_e32 v7, 6, v74
	v_sub_nc_u16 v72, v55, v11
	v_mov_b32_e32 v23, v137
	v_add_nc_u32_e32 v21, 0x2200, v132
	v_lshlrev_b32_e32 v17, 2, v7
	v_lshrrev_b16 v7, 2, v18
	v_mul_lo_u16 v14, v72, 6
	v_mul_lo_u16 v11, v7, 7
	v_lshlrev_b32_sdwa v18, v79, v14 dst_sel:DWORD dst_unused:UNUSED_PAD src0_sel:DWORD src1_sel:WORD_0
	v_sub_nc_u16 v11, v56, v11
	v_mul_lo_u16 v14, v11, 6
	v_mad_u16 v7, v7, 49, v11
	v_lshlrev_b32_sdwa v136, v79, v14 dst_sel:DWORD dst_unused:UNUSED_PAD src0_sel:DWORD src1_sel:WORD_0
	ds_read_b32 v69, v132 offset:9408
	ds_read2_b32 v[76:77], v193 offset0:136 offset1:185
	ds_read2_b32 v[85:86], v183 offset0:54 offset1:103
	;; [unrolled: 1-line block ×17, first 2 shown]
	s_clause 0xb
	global_load_dwordx2 v[171:172], v19, s[2:3] offset:16
	global_load_dwordx2 v[175:176], v20, s[2:3] offset:16
	global_load_dwordx2 v[165:166], v17, s[2:3] offset:16
	global_load_dwordx2 v[173:174], v18, s[2:3] offset:16
	global_load_dwordx2 v[177:178], v136, s[2:3] offset:16
	global_load_dwordx2 v[167:168], v16, s[2:3] offset:16
	global_load_dwordx4 v[155:158], v16, s[2:3]
	global_load_dwordx4 v[95:98], v19, s[2:3]
	;; [unrolled: 1-line block ×6, first 2 shown]
	s_waitcnt vmcnt(0) lgkmcnt(0)
	s_barrier
	buffer_gl0_inv
	ds_write2_b32 v204, v70, v128 offset1:7
	v_add_f16_e32 v70, v65, v64
	v_sub_f16_e32 v64, v64, v65
	v_lshlrev_b32_sdwa v217, v79, v7 dst_sel:DWORD dst_unused:UNUSED_PAD src0_sel:DWORD src1_sel:WORD_0
	v_add_nc_u32_e32 v20, 0x1600, v132
	v_pack_b32_f16 v68, v68, v70
	v_pack_b32_f16 v61, v63, v64
	v_lshrrev_b32_e32 v63, 16, v8
	ds_write2_b32 v204, v67, v68 offset0:14 offset1:21
	ds_write2_b32 v204, v61, v9 offset0:28 offset1:35
	v_lshrrev_b32_e32 v9, 16, v10
	v_lshrrev_b32_e32 v61, 16, v13
	v_mul_f16_sdwa v64, v63, v168 dst_sel:DWORD dst_unused:UNUSED_PAD src0_sel:DWORD src1_sel:WORD_1
	v_mul_f16_sdwa v65, v76, v155 dst_sel:DWORD dst_unused:UNUSED_PAD src0_sel:DWORD src1_sel:WORD_1
	;; [unrolled: 1-line block ×5, first 2 shown]
	v_fma_f16 v64, v8, v168, -v64
	v_mul_f16_sdwa v8, v8, v168 dst_sel:DWORD dst_unused:UNUSED_PAD src0_sel:DWORD src1_sel:WORD_1
	v_fma_f16 v60, v10, v156, -v60
	v_mul_f16_sdwa v10, v10, v156 dst_sel:DWORD dst_unused:UNUSED_PAD src0_sel:DWORD src1_sel:WORD_1
	v_mul_f16_sdwa v70, v85, v157 dst_sel:DWORD dst_unused:UNUSED_PAD src0_sel:DWORD src1_sel:WORD_1
	v_fma_f16 v62, v13, v158, -v62
	v_fmac_f16_e32 v8, v63, v168
	v_lshrrev_b32_e32 v63, 16, v76
	v_fmac_f16_e32 v10, v9, v156
	v_mul_f16_sdwa v13, v13, v158 dst_sel:DWORD dst_unused:UNUSED_PAD src0_sel:DWORD src1_sel:WORD_1
	v_sub_f16_e32 v9, v124, v126
	v_fmac_f16_e32 v65, v63, v155
	v_mul_f16_sdwa v63, v63, v155 dst_sel:DWORD dst_unused:UNUSED_PAD src0_sel:DWORD src1_sel:WORD_1
	v_fmac_f16_e32 v13, v61, v158
	v_add_f16_e32 v61, v127, v125
	v_fma_f16 v63, v76, v155, -v63
	v_pack_b32_f16 v9, v9, v61
	v_mul_u32_u24_sdwa v61, v129, v73 dst_sel:DWORD dst_unused:UNUSED_PAD src0_sel:WORD_0 src1_sel:DWORD
	v_add_f16_e32 v66, v63, v64
	v_sub_f16_e32 v63, v63, v64
	v_add_f16_e32 v64, v65, v8
	v_sub_f16_e32 v8, v65, v8
	v_lshrrev_b32_e32 v65, 16, v87
	v_add_lshl_u32 v210, v61, v131, 2
	v_fmac_f16_e32 v67, v65, v167
	v_mul_f16_sdwa v65, v65, v167 dst_sel:DWORD dst_unused:UNUSED_PAD src0_sel:DWORD src1_sel:WORD_1
	v_fma_f16 v65, v87, v167, -v65
	v_add_f16_e32 v68, v60, v65
	v_sub_f16_e32 v60, v60, v65
	v_add_f16_e32 v65, v10, v67
	v_sub_f16_e32 v10, v10, v67
	v_lshrrev_b32_e32 v67, 16, v85
	v_add_f16_e32 v80, v68, v66
	v_fmac_f16_e32 v70, v67, v157
	v_mul_f16_sdwa v67, v67, v157 dst_sel:DWORD dst_unused:UNUSED_PAD src0_sel:DWORD src1_sel:WORD_1
	v_fma_f16 v67, v85, v157, -v67
	v_add_f16_e32 v76, v67, v62
	v_sub_f16_e32 v62, v62, v67
	v_add_f16_e32 v67, v70, v13
	v_sub_f16_e32 v13, v13, v70
	v_add_f16_e32 v70, v65, v64
	v_add_f16_e32 v80, v76, v80
	v_sub_f16_e32 v61, v66, v76
	v_sub_f16_e32 v115, v62, v60
	;; [unrolled: 1-line block ×3, first 2 shown]
	v_add_f16_e32 v70, v67, v70
	v_add_f16_e32 v116, v13, v10
	v_sub_f16_e32 v13, v8, v13
	v_mul_f16_e32 v61, 0x3a52, v61
	v_mul_f16_e32 v115, 0xb846, v115
	v_add_f16_sdwa v85, v70, v12 dst_sel:DWORD dst_unused:UNUSED_PAD src0_sel:DWORD src1_sel:WORD_1
	v_add_f16_e32 v12, v80, v12
	v_mul_f16_e32 v117, 0xb846, v117
	v_add_f16_e32 v116, v116, v8
	v_sub_f16_e32 v8, v10, v8
	v_lshlrev_b32_e32 v87, 16, v85
	v_fmac_f16_e32 v85, 0xbcab, v70
	v_sub_f16_e32 v70, v76, v68
	v_sub_f16_e32 v76, v64, v67
	;; [unrolled: 1-line block ×3, first 2 shown]
	v_or_b32_sdwa v87, v87, v12 dst_sel:DWORD dst_unused:UNUSED_PAD src0_sel:DWORD src1_sel:WORD_0
	v_fmac_f16_e32 v12, 0xbcab, v80
	v_add_f16_e32 v80, v62, v60
	v_sub_f16_e32 v62, v63, v62
	v_mul_f16_e32 v76, 0x3a52, v76
	v_fmamk_f16 v118, v70, 0x2b26, v61
	v_fmamk_f16 v120, v13, 0x3574, v117
	v_add_f16_e32 v80, v80, v63
	v_fmamk_f16 v121, v62, 0x3574, v115
	v_fmamk_f16 v119, v67, 0x2b26, v76
	v_add_f16_e32 v118, v118, v12
	v_fmac_f16_e32 v120, 0x370e, v116
	v_mul_f16_e32 v10, 0x2b26, v70
	v_fmac_f16_e32 v121, 0x370e, v80
	v_add_f16_e32 v119, v119, v85
	v_sub_f16_e32 v64, v65, v64
	v_add_f16_e32 v122, v120, v118
	v_sub_f16_e32 v60, v60, v63
	v_sub_f16_e32 v123, v119, v121
	v_fma_f16 v63, v64, 0xb9e0, -v76
	v_pack_b32_f16 v122, v122, v123
	ds_write_b32 v204, v9 offset:168
	ds_write2_b32 v210, v87, v122 offset1:7
	v_sub_f16_e32 v9, v68, v66
	v_mul_f16_sdwa v66, v103, v96 dst_sel:DWORD dst_unused:UNUSED_PAD src0_sel:DWORD src1_sel:WORD_1
	v_mul_f16_sdwa v68, v105, v98 dst_sel:DWORD dst_unused:UNUSED_PAD src0_sel:DWORD src1_sel:WORD_1
	v_fma_f16 v10, v9, 0x39e0, -v10
	v_fma_f16 v9, v9, 0xb9e0, -v61
	v_mul_f16_e32 v61, 0x2b26, v67
	v_add_f16_e32 v10, v10, v12
	v_add_f16_e32 v9, v9, v12
	v_fma_f16 v61, v64, 0x39e0, -v61
	v_fma_f16 v64, v60, 0x3b00, -v115
	v_mul_f16_e32 v60, 0xbb00, v60
	v_add_f16_e32 v12, v61, v85
	v_fmac_f16_e32 v64, 0x370e, v80
	v_fmac_f16_e32 v60, 0xb574, v62
	v_fma_f16 v62, v8, 0x3b00, -v117
	v_mul_f16_e32 v8, 0xbb00, v8
	v_add_f16_e32 v65, v64, v12
	v_fmac_f16_e32 v60, 0x370e, v80
	v_fmac_f16_e32 v62, 0x370e, v116
	;; [unrolled: 1-line block ×3, first 2 shown]
	v_add_f16_e32 v13, v63, v85
	v_sub_f16_e32 v12, v12, v64
	v_mul_f16_sdwa v64, v107, v172 dst_sel:DWORD dst_unused:UNUSED_PAD src0_sel:DWORD src1_sel:WORD_1
	v_fmac_f16_e32 v8, 0x370e, v116
	v_sub_f16_e32 v63, v13, v60
	v_add_f16_e32 v61, v8, v9
	v_sub_f16_e32 v8, v9, v8
	v_add_f16_e32 v9, v60, v13
	v_mul_f16_sdwa v60, v86, v97 dst_sel:DWORD dst_unused:UNUSED_PAD src0_sel:DWORD src1_sel:WORD_1
	v_pack_b32_f16 v61, v61, v63
	v_sub_f16_e32 v63, v10, v62
	v_add_f16_e32 v10, v62, v10
	v_pack_b32_f16 v8, v8, v9
	v_pack_b32_f16 v63, v63, v65
	;; [unrolled: 1-line block ×3, first 2 shown]
	v_lshrrev_b32_e32 v12, 16, v86
	ds_write2_b32 v210, v61, v63 offset0:14 offset1:21
	v_lshrrev_b32_e32 v61, 16, v88
	v_mul_f16_sdwa v63, v88, v171 dst_sel:DWORD dst_unused:UNUSED_PAD src0_sel:DWORD src1_sel:WORD_1
	ds_write2_b32 v210, v10, v8 offset0:28 offset1:35
	v_lshrrev_b32_e32 v8, 16, v77
	v_mul_f16_sdwa v10, v77, v95 dst_sel:DWORD dst_unused:UNUSED_PAD src0_sel:DWORD src1_sel:WORD_1
	v_mul_f16_sdwa v62, v61, v171 dst_sel:DWORD dst_unused:UNUSED_PAD src0_sel:DWORD src1_sel:WORD_1
	v_fmac_f16_e32 v63, v61, v171
	v_lshrrev_b32_e32 v61, 16, v107
	v_mul_f16_sdwa v9, v8, v95 dst_sel:DWORD dst_unused:UNUSED_PAD src0_sel:DWORD src1_sel:WORD_1
	v_fmac_f16_e32 v10, v8, v95
	v_fma_f16 v62, v88, v171, -v62
	v_mul_f16_sdwa v13, v12, v97 dst_sel:DWORD dst_unused:UNUSED_PAD src0_sel:DWORD src1_sel:WORD_1
	v_fmac_f16_e32 v64, v61, v172
	v_mul_f16_sdwa v61, v61, v172 dst_sel:DWORD dst_unused:UNUSED_PAD src0_sel:DWORD src1_sel:WORD_1
	v_fma_f16 v9, v77, v95, -v9
	v_fmac_f16_e32 v60, v12, v97
	v_fma_f16 v13, v86, v97, -v13
	v_sub_f16_e32 v8, v118, v120
	v_fma_f16 v61, v107, v172, -v61
	v_add_f16_e32 v12, v121, v119
	v_add_f16_e32 v65, v9, v61
	v_sub_f16_e32 v9, v9, v61
	v_add_f16_e32 v61, v10, v64
	v_sub_f16_e32 v10, v10, v64
	v_lshrrev_b32_e32 v64, 16, v103
	v_pack_b32_f16 v8, v8, v12
	v_mul_u32_u24_sdwa v12, v130, v73 dst_sel:DWORD dst_unused:UNUSED_PAD src0_sel:WORD_0 src1_sel:DWORD
	v_fmac_f16_e32 v66, v64, v96
	v_mul_f16_sdwa v64, v64, v96 dst_sel:DWORD dst_unused:UNUSED_PAD src0_sel:DWORD src1_sel:WORD_1
	v_add_lshl_u32 v212, v12, v134, 2
	v_fma_f16 v64, v103, v96, -v64
	v_add_f16_e32 v67, v64, v62
	v_sub_f16_e32 v62, v64, v62
	v_add_f16_e32 v64, v66, v63
	v_sub_f16_e32 v63, v66, v63
	v_lshrrev_b32_e32 v66, 16, v105
	v_add_f16_e32 v76, v67, v65
	v_fmac_f16_e32 v68, v66, v98
	v_mul_f16_sdwa v66, v66, v98 dst_sel:DWORD dst_unused:UNUSED_PAD src0_sel:DWORD src1_sel:WORD_1
	v_fma_f16 v66, v105, v98, -v66
	v_add_f16_e32 v70, v13, v66
	v_sub_f16_e32 v13, v66, v13
	v_add_f16_e32 v66, v60, v68
	v_sub_f16_e32 v60, v68, v60
	v_add_f16_e32 v68, v64, v61
	v_add_f16_e32 v76, v70, v76
	v_sub_f16_e32 v12, v65, v70
	v_sub_f16_e32 v86, v13, v62
	;; [unrolled: 1-line block ×3, first 2 shown]
	v_add_f16_e32 v68, v66, v68
	v_add_f16_e32 v80, v76, v89
	;; [unrolled: 1-line block ×3, first 2 shown]
	v_sub_f16_e32 v60, v10, v60
	v_mul_f16_e32 v12, 0x3a52, v12
	v_add_f16_sdwa v77, v68, v89 dst_sel:DWORD dst_unused:UNUSED_PAD src0_sel:DWORD src1_sel:WORD_1
	v_mul_f16_e32 v86, 0xb846, v86
	v_mul_f16_e32 v88, 0xb846, v88
	v_add_f16_e32 v87, v87, v10
	v_sub_f16_e32 v10, v63, v10
	v_lshlrev_b32_e32 v85, 16, v77
	v_fmac_f16_e32 v77, 0xbcab, v68
	v_sub_f16_e32 v68, v70, v67
	v_sub_f16_e32 v70, v61, v66
	;; [unrolled: 1-line block ×3, first 2 shown]
	v_or_b32_sdwa v85, v85, v80 dst_sel:DWORD dst_unused:UNUSED_PAD src0_sel:DWORD src1_sel:WORD_0
	v_fmac_f16_e32 v80, 0xbcab, v76
	v_add_f16_e32 v76, v13, v62
	v_sub_f16_e32 v13, v9, v13
	v_mul_f16_e32 v70, 0x3a52, v70
	v_fmamk_f16 v89, v68, 0x2b26, v12
	v_fmamk_f16 v105, v60, 0x3574, v88
	v_add_f16_e32 v76, v76, v9
	v_fmamk_f16 v107, v13, 0x3574, v86
	v_fmamk_f16 v103, v66, 0x2b26, v70
	v_add_f16_e32 v89, v89, v80
	v_fmac_f16_e32 v105, 0x370e, v87
	v_sub_f16_e32 v9, v62, v9
	v_fmac_f16_e32 v107, 0x370e, v76
	v_add_f16_e32 v103, v103, v77
	v_mul_f16_e32 v62, 0x2b26, v68
	v_add_f16_e32 v115, v105, v89
	v_fma_f16 v63, v9, 0x3b00, -v86
	v_mul_f16_e32 v9, 0xbb00, v9
	v_sub_f16_e32 v116, v103, v107
	v_sub_f16_e32 v61, v64, v61
	v_mul_f16_sdwa v68, v111, v101 dst_sel:DWORD dst_unused:UNUSED_PAD src0_sel:DWORD src1_sel:WORD_1
	v_fmac_f16_e32 v63, 0x370e, v76
	v_fmac_f16_e32 v9, 0xb574, v13
	v_pack_b32_f16 v115, v115, v116
	ds_write_b32 v210, v8 offset:168
	ds_write2_b32 v212, v85, v115 offset1:7
	v_sub_f16_e32 v8, v67, v65
	v_fma_f16 v13, v10, 0x3b00, -v88
	v_mul_f16_e32 v10, 0xbb00, v10
	v_fmac_f16_e32 v9, 0x370e, v76
	v_fma_f16 v62, v8, 0x39e0, -v62
	v_fma_f16 v8, v8, 0xb9e0, -v12
	v_mul_f16_e32 v12, 0x2b26, v66
	v_fmac_f16_e32 v10, 0xb574, v60
	v_fmac_f16_e32 v13, 0x370e, v87
	v_add_f16_e32 v60, v62, v80
	v_add_f16_e32 v8, v8, v80
	v_fma_f16 v12, v61, 0x39e0, -v12
	v_fma_f16 v61, v61, 0xb9e0, -v70
	v_fmac_f16_e32 v10, 0x370e, v87
	v_mul_f16_sdwa v66, v113, v175 dst_sel:DWORD dst_unused:UNUSED_PAD src0_sel:DWORD src1_sel:WORD_1
	v_add_f16_e32 v12, v12, v77
	v_add_f16_e32 v61, v61, v77
	;; [unrolled: 1-line block ×3, first 2 shown]
	v_sub_f16_e32 v8, v8, v10
	v_add_f16_e32 v65, v63, v12
	v_sub_f16_e32 v64, v61, v9
	v_sub_f16_e32 v12, v12, v63
	v_add_f16_e32 v9, v9, v61
	v_lshrrev_b32_e32 v61, 16, v108
	v_mul_f16_sdwa v63, v108, v176 dst_sel:DWORD dst_unused:UNUSED_PAD src0_sel:DWORD src1_sel:WORD_1
	v_pack_b32_f16 v62, v62, v64
	v_sub_f16_e32 v64, v60, v13
	v_add_f16_e32 v13, v13, v60
	v_pack_b32_f16 v8, v8, v9
	v_fmac_f16_e32 v63, v61, v176
	v_mul_f16_sdwa v60, v106, v102 dst_sel:DWORD dst_unused:UNUSED_PAD src0_sel:DWORD src1_sel:WORD_1
	v_pack_b32_f16 v64, v64, v65
	v_pack_b32_f16 v10, v13, v12
	v_lshrrev_b32_e32 v12, 16, v106
	ds_write2_b32 v212, v62, v64 offset0:14 offset1:21
	v_mul_f16_sdwa v62, v61, v176 dst_sel:DWORD dst_unused:UNUSED_PAD src0_sel:DWORD src1_sel:WORD_1
	v_lshrrev_b32_e32 v61, 16, v109
	v_mul_f16_sdwa v64, v109, v99 dst_sel:DWORD dst_unused:UNUSED_PAD src0_sel:DWORD src1_sel:WORD_1
	ds_write2_b32 v212, v10, v8 offset0:28 offset1:35
	v_lshrrev_b32_e32 v8, 16, v104
	v_fma_f16 v62, v108, v176, -v62
	v_mul_f16_sdwa v10, v104, v100 dst_sel:DWORD dst_unused:UNUSED_PAD src0_sel:DWORD src1_sel:WORD_1
	v_fmac_f16_e32 v64, v61, v99
	v_mul_f16_sdwa v61, v61, v99 dst_sel:DWORD dst_unused:UNUSED_PAD src0_sel:DWORD src1_sel:WORD_1
	v_mul_f16_sdwa v9, v8, v100 dst_sel:DWORD dst_unused:UNUSED_PAD src0_sel:DWORD src1_sel:WORD_1
	;; [unrolled: 1-line block ×3, first 2 shown]
	v_fmac_f16_e32 v10, v8, v100
	v_fmac_f16_e32 v60, v12, v102
	v_fma_f16 v61, v109, v99, -v61
	v_fma_f16 v9, v104, v100, -v9
	v_fma_f16 v13, v106, v102, -v13
	v_sub_f16_e32 v8, v89, v105
	v_add_f16_e32 v12, v107, v103
	v_add_f16_e32 v65, v61, v62
	v_sub_f16_e32 v61, v61, v62
	v_add_f16_e32 v62, v64, v63
	v_sub_f16_e32 v63, v64, v63
	v_lshrrev_b32_e32 v64, 16, v113
	v_pack_b32_f16 v8, v8, v12
	v_mul_u32_u24_sdwa v12, v133, v73 dst_sel:DWORD dst_unused:UNUSED_PAD src0_sel:WORD_0 src1_sel:DWORD
	v_fmac_f16_e32 v66, v64, v175
	v_mul_f16_sdwa v64, v64, v175 dst_sel:DWORD dst_unused:UNUSED_PAD src0_sel:DWORD src1_sel:WORD_1
	v_add_lshl_u32 v190, v12, v135, 2
	v_fma_f16 v64, v113, v175, -v64
	v_add_f16_e32 v67, v9, v64
	v_sub_f16_e32 v9, v9, v64
	v_add_f16_e32 v64, v10, v66
	v_sub_f16_e32 v10, v10, v66
	v_lshrrev_b32_e32 v66, 16, v111
	v_add_f16_e32 v76, v67, v65
	v_fmac_f16_e32 v68, v66, v101
	v_mul_f16_sdwa v66, v66, v101 dst_sel:DWORD dst_unused:UNUSED_PAD src0_sel:DWORD src1_sel:WORD_1
	v_fma_f16 v66, v111, v101, -v66
	v_add_f16_e32 v70, v66, v13
	v_sub_f16_e32 v13, v13, v66
	v_add_f16_e32 v66, v68, v60
	v_sub_f16_e32 v60, v60, v68
	v_add_f16_e32 v68, v64, v62
	v_add_f16_e32 v76, v70, v76
	v_sub_f16_e32 v12, v65, v70
	v_sub_f16_e32 v86, v13, v9
	;; [unrolled: 1-line block ×3, first 2 shown]
	v_add_f16_e32 v68, v66, v68
	v_add_f16_e32 v80, v76, v90
	;; [unrolled: 1-line block ×3, first 2 shown]
	v_sub_f16_e32 v60, v63, v60
	v_mul_f16_e32 v12, 0x3a52, v12
	v_add_f16_sdwa v77, v68, v90 dst_sel:DWORD dst_unused:UNUSED_PAD src0_sel:DWORD src1_sel:WORD_1
	v_mul_f16_e32 v86, 0xb846, v86
	v_mul_f16_e32 v88, 0xb846, v88
	v_add_f16_e32 v87, v87, v63
	v_sub_f16_e32 v10, v10, v63
	v_lshlrev_b32_e32 v85, 16, v77
	v_fmac_f16_e32 v77, 0xbcab, v68
	v_sub_f16_e32 v68, v70, v67
	v_sub_f16_e32 v70, v62, v66
	;; [unrolled: 1-line block ×3, first 2 shown]
	v_or_b32_sdwa v85, v85, v80 dst_sel:DWORD dst_unused:UNUSED_PAD src0_sel:DWORD src1_sel:WORD_0
	v_fmac_f16_e32 v80, 0xbcab, v76
	v_add_f16_e32 v76, v13, v9
	v_sub_f16_e32 v13, v61, v13
	v_mul_f16_e32 v70, 0x3a52, v70
	v_fmamk_f16 v89, v68, 0x2b26, v12
	v_fmamk_f16 v103, v60, 0x3574, v88
	v_add_f16_e32 v76, v76, v61
	v_fmamk_f16 v104, v13, 0x3574, v86
	v_fmamk_f16 v90, v66, 0x2b26, v70
	v_add_f16_e32 v89, v89, v80
	v_fmac_f16_e32 v103, 0x370e, v87
	v_sub_f16_e32 v9, v9, v61
	v_fmac_f16_e32 v104, 0x370e, v76
	v_add_f16_e32 v90, v90, v77
	v_mul_f16_e32 v61, 0x2b26, v68
	v_add_f16_e32 v105, v103, v89
	v_fma_f16 v63, v9, 0x3b00, -v86
	v_mul_f16_e32 v9, 0xbb00, v9
	v_sub_f16_e32 v106, v90, v104
	v_sub_f16_e32 v62, v64, v62
	v_fmac_f16_e32 v63, 0x370e, v76
	v_fmac_f16_e32 v9, 0xb574, v13
	v_pack_b32_f16 v105, v105, v106
	ds_write_b32 v212, v8 offset:168
	ds_write2_b32 v190, v85, v105 offset1:7
	v_sub_f16_e32 v8, v67, v65
	v_fma_f16 v13, v10, 0x3b00, -v88
	v_mul_f16_e32 v10, 0xbb00, v10
	v_fmac_f16_e32 v9, 0x370e, v76
	v_fma_f16 v61, v8, 0x39e0, -v61
	v_fma_f16 v8, v8, 0xb9e0, -v12
	v_mul_f16_e32 v12, 0x2b26, v66
	v_fmac_f16_e32 v10, 0xb574, v60
	v_fmac_f16_e32 v13, 0x370e, v87
	v_add_f16_e32 v60, v61, v80
	v_add_f16_e32 v8, v8, v80
	v_fma_f16 v12, v62, 0x39e0, -v12
	v_fma_f16 v62, v62, 0xb9e0, -v70
	v_fmac_f16_e32 v10, 0x370e, v87
	v_mul_f16_sdwa v66, v48, v142 dst_sel:DWORD dst_unused:UNUSED_PAD src0_sel:DWORD src1_sel:WORD_1
	v_add_f16_e32 v12, v12, v77
	v_add_f16_e32 v61, v62, v77
	;; [unrolled: 1-line block ×3, first 2 shown]
	v_sub_f16_e32 v8, v8, v10
	v_add_f16_e32 v65, v63, v12
	v_sub_f16_e32 v64, v61, v9
	v_sub_f16_e32 v12, v12, v63
	v_add_f16_e32 v9, v9, v61
	v_lshrrev_b32_e32 v61, 16, v114
	v_mul_f16_sdwa v63, v114, v165 dst_sel:DWORD dst_unused:UNUSED_PAD src0_sel:DWORD src1_sel:WORD_1
	v_pack_b32_f16 v62, v62, v64
	v_sub_f16_e32 v64, v60, v13
	v_add_f16_e32 v13, v13, v60
	v_pack_b32_f16 v8, v8, v9
	v_fmac_f16_e32 v63, v61, v165
	v_mul_f16_sdwa v60, v112, v141 dst_sel:DWORD dst_unused:UNUSED_PAD src0_sel:DWORD src1_sel:WORD_1
	v_pack_b32_f16 v64, v64, v65
	v_pack_b32_f16 v10, v13, v12
	v_mul_f16_sdwa v65, v50, v140 dst_sel:DWORD dst_unused:UNUSED_PAD src0_sel:DWORD src1_sel:WORD_1
	v_lshrrev_b32_e32 v12, 16, v112
	ds_write2_b32 v190, v62, v64 offset0:14 offset1:21
	ds_write2_b32 v190, v10, v8 offset0:28 offset1:35
	v_lshrrev_b32_e32 v8, 16, v110
	v_mul_f16_sdwa v62, v61, v165 dst_sel:DWORD dst_unused:UNUSED_PAD src0_sel:DWORD src1_sel:WORD_1
	v_lshrrev_b32_e32 v61, 16, v46
	v_mul_f16_sdwa v64, v46, v166 dst_sel:DWORD dst_unused:UNUSED_PAD src0_sel:DWORD src1_sel:WORD_1
	v_mul_f16_sdwa v10, v110, v139 dst_sel:DWORD dst_unused:UNUSED_PAD src0_sel:DWORD src1_sel:WORD_1
	;; [unrolled: 1-line block ×3, first 2 shown]
	v_fma_f16 v62, v114, v165, -v62
	v_mul_f16_sdwa v13, v12, v141 dst_sel:DWORD dst_unused:UNUSED_PAD src0_sel:DWORD src1_sel:WORD_1
	v_fmac_f16_e32 v64, v61, v166
	v_mul_f16_sdwa v61, v61, v166 dst_sel:DWORD dst_unused:UNUSED_PAD src0_sel:DWORD src1_sel:WORD_1
	v_fma_f16 v9, v110, v139, -v9
	v_fmac_f16_e32 v10, v8, v139
	v_fma_f16 v13, v112, v141, -v13
	v_fmac_f16_e32 v60, v12, v141
	v_fma_f16 v46, v46, v166, -v61
	v_sub_f16_e32 v8, v89, v103
	v_add_f16_e32 v12, v104, v90
	v_add_f16_e32 v61, v9, v46
	v_sub_f16_e32 v9, v9, v46
	v_add_f16_e32 v46, v10, v64
	v_sub_f16_e32 v10, v10, v64
	v_lshrrev_b32_e32 v64, 16, v50
	v_pack_b32_f16 v8, v8, v12
	v_fmac_f16_e32 v65, v64, v140
	v_mul_f16_sdwa v64, v64, v140 dst_sel:DWORD dst_unused:UNUSED_PAD src0_sel:DWORD src1_sel:WORD_1
	v_fma_f16 v50, v50, v140, -v64
	v_add_f16_e32 v64, v50, v62
	v_sub_f16_e32 v50, v50, v62
	v_add_f16_e32 v62, v65, v63
	v_sub_f16_e32 v63, v65, v63
	v_lshrrev_b32_e32 v65, 16, v48
	v_add_f16_e32 v68, v64, v61
	v_add_f16_e32 v67, v62, v46
	v_fmac_f16_e32 v66, v65, v142
	v_mul_f16_sdwa v65, v65, v142 dst_sel:DWORD dst_unused:UNUSED_PAD src0_sel:DWORD src1_sel:WORD_1
	v_fma_f16 v48, v48, v142, -v65
	v_add_f16_e32 v65, v13, v48
	v_sub_f16_e32 v13, v48, v13
	v_add_f16_e32 v48, v60, v66
	v_sub_f16_e32 v60, v66, v60
	v_mul_u32_u24_sdwa v66, v75, v73 dst_sel:DWORD dst_unused:UNUSED_PAD src0_sel:WORD_0 src1_sel:DWORD
	v_add_f16_e32 v68, v65, v68
	v_sub_f16_e32 v12, v61, v65
	v_add_f16_e32 v67, v48, v67
	v_sub_f16_e32 v75, v60, v63
	v_add_lshl_u32 v189, v66, v74, 2
	v_sub_f16_e32 v66, v46, v48
	v_sub_f16_e32 v65, v65, v64
	v_add_f16_sdwa v70, v67, v44 dst_sel:DWORD dst_unused:UNUSED_PAD src0_sel:DWORD src1_sel:WORD_1
	v_add_f16_e32 v44, v68, v44
	v_sub_f16_e32 v48, v48, v62
	v_add_f16_e32 v74, v60, v63
	v_sub_f16_e32 v60, v10, v60
	v_lshlrev_b32_e32 v73, 16, v70
	v_fmac_f16_e32 v70, 0xbcab, v67
	v_add_f16_e32 v67, v13, v50
	v_mul_f16_e32 v12, 0x3a52, v12
	v_mul_f16_e32 v66, 0x3a52, v66
	v_or_b32_sdwa v73, v73, v44 dst_sel:DWORD dst_unused:UNUSED_PAD src0_sel:DWORD src1_sel:WORD_0
	v_fmac_f16_e32 v44, 0xbcab, v68
	v_sub_f16_e32 v68, v13, v50
	v_sub_f16_e32 v13, v9, v13
	v_mul_f16_e32 v75, 0xb846, v75
	v_add_f16_e32 v67, v67, v9
	v_add_f16_e32 v74, v74, v10
	v_mul_f16_e32 v68, 0xb846, v68
	v_fmamk_f16 v76, v65, 0x2b26, v12
	v_fmamk_f16 v77, v48, 0x2b26, v66
	v_fmamk_f16 v80, v60, 0x3574, v75
	v_sub_f16_e32 v9, v50, v9
	v_fmamk_f16 v85, v13, 0x3574, v68
	v_add_f16_e32 v76, v76, v44
	v_add_f16_e32 v77, v77, v70
	v_fmac_f16_e32 v80, 0x370e, v74
	v_mul_f16_e32 v50, 0x2b26, v65
	v_fmac_f16_e32 v85, 0x370e, v67
	v_sub_f16_e32 v10, v63, v10
	v_sub_f16_e32 v46, v62, v46
	v_add_f16_e32 v86, v80, v76
	v_sub_f16_e32 v87, v77, v85
	v_pack_b32_f16 v86, v86, v87
	ds_write_b32 v190, v8 offset:168
	ds_write2_b32 v189, v73, v86 offset1:7
	v_sub_f16_e32 v8, v64, v61
	v_fma_f16 v50, v8, 0x39e0, -v50
	v_fma_f16 v8, v8, 0xb9e0, -v12
	v_mul_f16_e32 v12, 0x2b26, v48
	v_fma_f16 v48, v9, 0x3b00, -v68
	v_mul_f16_e32 v9, 0xbb00, v9
	v_add_f16_e32 v50, v50, v44
	v_add_f16_e32 v8, v8, v44
	v_fma_f16 v12, v46, 0x39e0, -v12
	v_fma_f16 v46, v46, 0xb9e0, -v66
	v_fmac_f16_e32 v9, 0xb574, v13
	v_fma_f16 v13, v10, 0x3b00, -v75
	v_mul_f16_e32 v10, 0xbb00, v10
	v_add_f16_e32 v12, v12, v70
	v_add_f16_e32 v44, v46, v70
	v_fmac_f16_e32 v9, 0x370e, v67
	v_fmac_f16_e32 v48, 0x370e, v67
	;; [unrolled: 1-line block ×4, first 2 shown]
	v_sub_f16_e32 v60, v44, v9
	v_add_f16_e32 v61, v48, v12
	v_fmac_f16_e32 v10, 0x370e, v74
	v_sub_f16_e32 v12, v12, v48
	v_add_f16_e32 v9, v9, v44
	v_mul_f16_sdwa v44, v49, v146 dst_sel:DWORD dst_unused:UNUSED_PAD src0_sel:DWORD src1_sel:WORD_1
	v_add_f16_e32 v46, v10, v8
	v_sub_f16_e32 v8, v8, v10
	v_pack_b32_f16 v46, v46, v60
	v_sub_f16_e32 v60, v50, v13
	v_add_f16_e32 v13, v13, v50
	v_pack_b32_f16 v8, v8, v9
	v_mul_f16_sdwa v50, v14, v173 dst_sel:DWORD dst_unused:UNUSED_PAD src0_sel:DWORD src1_sel:WORD_1
	v_pack_b32_f16 v60, v60, v61
	v_pack_b32_f16 v10, v13, v12
	v_lshrrev_b32_e32 v12, 16, v49
	ds_write2_b32 v189, v46, v60 offset0:14 offset1:21
	v_lshrrev_b32_e32 v46, 16, v47
	v_mul_f16_sdwa v13, v12, v146 dst_sel:DWORD dst_unused:UNUSED_PAD src0_sel:DWORD src1_sel:WORD_1
	ds_write2_b32 v189, v10, v8 offset0:28 offset1:35
	v_lshrrev_b32_e32 v8, 16, v51
	v_mul_f16_sdwa v10, v51, v144 dst_sel:DWORD dst_unused:UNUSED_PAD src0_sel:DWORD src1_sel:WORD_1
	v_mul_f16_sdwa v48, v46, v174 dst_sel:DWORD dst_unused:UNUSED_PAD src0_sel:DWORD src1_sel:WORD_1
	v_fma_f16 v13, v49, v146, -v13
	v_mul_f16_sdwa v49, v42, v143 dst_sel:DWORD dst_unused:UNUSED_PAD src0_sel:DWORD src1_sel:WORD_1
	v_mul_f16_sdwa v9, v8, v144 dst_sel:DWORD dst_unused:UNUSED_PAD src0_sel:DWORD src1_sel:WORD_1
	v_fmac_f16_e32 v10, v8, v144
	v_fma_f16 v48, v47, v174, -v48
	v_mul_f16_sdwa v47, v47, v174 dst_sel:DWORD dst_unused:UNUSED_PAD src0_sel:DWORD src1_sel:WORD_1
	v_fmac_f16_e32 v44, v12, v146
	v_fma_f16 v9, v51, v144, -v9
	v_mul_f16_sdwa v51, v40, v145 dst_sel:DWORD dst_unused:UNUSED_PAD src0_sel:DWORD src1_sel:WORD_1
	v_sub_f16_e32 v8, v76, v80
	v_fmac_f16_e32 v47, v46, v174
	v_lshrrev_b32_e32 v46, 16, v42
	v_add_f16_e32 v12, v85, v77
	v_fmac_f16_e32 v49, v46, v143
	v_mul_f16_sdwa v46, v46, v143 dst_sel:DWORD dst_unused:UNUSED_PAD src0_sel:DWORD src1_sel:WORD_1
	v_pack_b32_f16 v8, v8, v12
	v_fma_f16 v42, v42, v143, -v46
	ds_write_b32 v189, v8 offset:168
	v_mad_u16 v8, v71, 49, v72
	v_add_f16_e32 v46, v42, v48
	v_sub_f16_e32 v42, v42, v48
	v_add_f16_e32 v48, v49, v47
	v_sub_f16_e32 v47, v49, v47
	v_lshrrev_b32_e32 v49, 16, v14
	v_lshlrev_b32_sdwa v216, v79, v8 dst_sel:DWORD dst_unused:UNUSED_PAD src0_sel:DWORD src1_sel:WORD_0
	v_fmac_f16_e32 v50, v49, v173
	v_mul_f16_sdwa v49, v49, v173 dst_sel:DWORD dst_unused:UNUSED_PAD src0_sel:DWORD src1_sel:WORD_1
	v_fma_f16 v14, v14, v173, -v49
	v_add_f16_e32 v49, v9, v14
	v_sub_f16_e32 v9, v9, v14
	v_add_f16_e32 v14, v10, v50
	v_sub_f16_e32 v10, v10, v50
	v_lshrrev_b32_e32 v50, 16, v40
	v_add_f16_e32 v60, v49, v46
	v_sub_f16_e32 v8, v49, v46
	v_fmac_f16_e32 v51, v50, v145
	v_mul_f16_sdwa v50, v50, v145 dst_sel:DWORD dst_unused:UNUSED_PAD src0_sel:DWORD src1_sel:WORD_1
	v_fma_f16 v40, v40, v145, -v50
	v_add_f16_e32 v50, v40, v13
	v_sub_f16_e32 v13, v13, v40
	v_add_f16_e32 v40, v51, v44
	v_sub_f16_e32 v44, v44, v51
	v_add_f16_e32 v51, v14, v48
	v_add_f16_e32 v60, v50, v60
	v_sub_f16_e32 v63, v13, v9
	v_add_f16_e32 v62, v13, v9
	v_sub_f16_e32 v65, v44, v10
	;; [unrolled: 2-line block ×4, first 2 shown]
	v_mul_f16_e32 v63, 0xb846, v63
	v_add_f16_sdwa v61, v51, v45 dst_sel:DWORD dst_unused:UNUSED_PAD src0_sel:DWORD src1_sel:WORD_1
	v_add_f16_e32 v45, v60, v45
	v_mul_f16_e32 v65, 0xb846, v65
	v_add_f16_e32 v62, v62, v42
	v_add_f16_e32 v64, v64, v47
	v_lshlrev_b32_e32 v12, 16, v61
	v_fmac_f16_e32 v61, 0xbcab, v51
	v_sub_f16_e32 v51, v46, v50
	v_sub_f16_e32 v50, v50, v49
	v_fmamk_f16 v68, v44, 0x3574, v65
	v_or_b32_sdwa v12, v12, v45 dst_sel:DWORD dst_unused:UNUSED_PAD src0_sel:DWORD src1_sel:WORD_0
	v_fmac_f16_e32 v45, 0xbcab, v60
	v_sub_f16_e32 v60, v48, v40
	v_sub_f16_e32 v40, v40, v14
	v_mul_f16_e32 v51, 0x3a52, v51
	v_fmamk_f16 v70, v13, 0x3574, v63
	v_fmac_f16_e32 v68, 0x370e, v64
	v_mul_f16_e32 v60, 0x3a52, v60
	v_sub_f16_e32 v9, v9, v42
	v_fmamk_f16 v66, v50, 0x2b26, v51
	v_fmac_f16_e32 v70, 0x370e, v62
	v_sub_f16_e32 v10, v10, v47
	v_fmamk_f16 v67, v40, 0x2b26, v60
	v_fma_f16 v42, v9, 0x3b00, -v63
	v_add_f16_e32 v66, v66, v45
	v_mul_f16_e32 v9, 0xbb00, v9
	v_mul_f16_e32 v40, 0x2b26, v40
	v_add_f16_e32 v67, v67, v61
	v_fmac_f16_e32 v42, 0x370e, v62
	v_add_f16_e32 v71, v68, v66
	v_fmac_f16_e32 v9, 0xb574, v13
	v_fma_f16 v13, v10, 0x3b00, -v65
	v_sub_f16_e32 v72, v67, v70
	v_mul_f16_e32 v10, 0xbb00, v10
	v_fmac_f16_e32 v9, 0x370e, v62
	v_fmac_f16_e32 v13, 0x370e, v64
	v_pack_b32_f16 v71, v71, v72
	v_fmac_f16_e32 v10, 0xb574, v44
	ds_write2_b32 v216, v12, v71 offset1:7
	v_sub_f16_e32 v12, v14, v48
	v_mul_f16_e32 v14, 0x2b26, v50
	v_fmac_f16_e32 v10, 0x370e, v64
	v_fma_f16 v40, v12, 0x39e0, -v40
	v_fma_f16 v14, v8, 0x39e0, -v14
	;; [unrolled: 1-line block ×4, first 2 shown]
	v_add_f16_e32 v40, v40, v61
	v_add_f16_e32 v14, v14, v45
	;; [unrolled: 1-line block ×6, first 2 shown]
	v_sub_f16_e32 v45, v12, v9
	v_sub_f16_e32 v8, v8, v10
	v_add_f16_e32 v9, v9, v12
	v_lshrrev_b32_e32 v12, 16, v6
	v_pack_b32_f16 v44, v44, v45
	v_sub_f16_e32 v45, v14, v13
	v_add_f16_e32 v13, v13, v14
	v_sub_f16_e32 v14, v40, v42
	v_pack_b32_f16 v8, v8, v9
	v_lshrrev_b32_e32 v42, 16, v5
	v_pack_b32_f16 v45, v45, v46
	v_pack_b32_f16 v10, v13, v14
	v_lshrrev_b32_e32 v14, 16, v41
	v_mul_f16_sdwa v13, v12, v148 dst_sel:DWORD dst_unused:UNUSED_PAD src0_sel:DWORD src1_sel:WORD_1
	ds_write2_b32 v216, v44, v45 offset0:14 offset1:21
	v_lshrrev_b32_e32 v44, 16, v15
	ds_write2_b32 v216, v10, v8 offset0:28 offset1:35
	v_lshrrev_b32_e32 v8, 16, v43
	v_mul_f16_sdwa v10, v43, v147 dst_sel:DWORD dst_unused:UNUSED_PAD src0_sel:DWORD src1_sel:WORD_1
	v_mul_f16_sdwa v40, v14, v149 dst_sel:DWORD dst_unused:UNUSED_PAD src0_sel:DWORD src1_sel:WORD_1
	v_fma_f16 v13, v6, v148, -v13
	v_mul_f16_sdwa v6, v6, v148 dst_sel:DWORD dst_unused:UNUSED_PAD src0_sel:DWORD src1_sel:WORD_1
	v_mul_f16_sdwa v9, v8, v147 dst_sel:DWORD dst_unused:UNUSED_PAD src0_sel:DWORD src1_sel:WORD_1
	v_mul_f16_sdwa v45, v44, v177 dst_sel:DWORD dst_unused:UNUSED_PAD src0_sel:DWORD src1_sel:WORD_1
	v_fma_f16 v40, v41, v149, -v40
	v_mul_f16_sdwa v41, v41, v149 dst_sel:DWORD dst_unused:UNUSED_PAD src0_sel:DWORD src1_sel:WORD_1
	v_fmac_f16_e32 v10, v8, v147
	v_lshrrev_b32_e32 v8, 16, v69
	v_fma_f16 v9, v43, v147, -v9
	v_mul_f16_sdwa v43, v42, v150 dst_sel:DWORD dst_unused:UNUSED_PAD src0_sel:DWORD src1_sel:WORD_1
	v_fma_f16 v45, v15, v177, -v45
	v_mul_f16_sdwa v15, v15, v177 dst_sel:DWORD dst_unused:UNUSED_PAD src0_sel:DWORD src1_sel:WORD_1
	v_fmac_f16_e32 v6, v12, v148
	v_fmac_f16_e32 v41, v14, v149
	v_mul_f16_sdwa v12, v8, v178 dst_sel:DWORD dst_unused:UNUSED_PAD src0_sel:DWORD src1_sel:WORD_1
	v_mul_f16_sdwa v14, v69, v178 dst_sel:DWORD dst_unused:UNUSED_PAD src0_sel:DWORD src1_sel:WORD_1
	v_fma_f16 v43, v5, v150, -v43
	v_mul_f16_sdwa v5, v5, v150 dst_sel:DWORD dst_unused:UNUSED_PAD src0_sel:DWORD src1_sel:WORD_1
	v_fmac_f16_e32 v15, v44, v177
	v_fma_f16 v12, v69, v178, -v12
	v_fmac_f16_e32 v14, v8, v178
	v_sub_f16_e32 v8, v66, v68
	v_fmac_f16_e32 v5, v42, v150
	v_add_f16_e32 v42, v70, v67
	v_add_f16_e32 v44, v9, v12
	v_sub_f16_e32 v9, v9, v12
	v_add_f16_e32 v12, v10, v14
	v_sub_f16_e32 v10, v10, v14
	;; [unrolled: 2-line block ×6, first 2 shown]
	v_add_f16_e32 v41, v45, v12
	v_add_f16_e32 v46, v14, v44
	v_pack_b32_f16 v8, v8, v42
	v_sub_f16_e32 v11, v15, v14
	v_add_f16_e32 v48, v5, v6
	v_add_f16_e32 v41, v43, v41
	;; [unrolled: 1-line block ×3, first 2 shown]
	ds_write_b32 v216, v8 offset:168
	v_sub_f16_e32 v8, v44, v15
	v_sub_f16_e32 v15, v12, v43
	v_add_f16_sdwa v47, v41, v4 dst_sel:DWORD dst_unused:UNUSED_PAD src0_sel:DWORD src1_sel:WORD_1
	v_add_f16_e32 v4, v46, v4
	v_sub_f16_e32 v49, v5, v6
	v_sub_f16_e32 v5, v10, v5
	v_mul_f16_e32 v8, 0x3a52, v8
	v_lshlrev_b32_e32 v42, 16, v47
	v_fmac_f16_e32 v47, 0xbcab, v41
	v_sub_f16_e32 v41, v43, v45
	v_add_f16_e32 v43, v40, v13
	v_add_f16_e32 v48, v48, v10
	v_or_b32_sdwa v42, v42, v4 dst_sel:DWORD dst_unused:UNUSED_PAD src0_sel:DWORD src1_sel:WORD_0
	v_fmac_f16_e32 v4, 0xbcab, v46
	v_sub_f16_e32 v46, v40, v13
	v_sub_f16_e32 v7, v14, v44
	;; [unrolled: 1-line block ×3, first 2 shown]
	v_mul_f16_e32 v10, 0x2b26, v11
	v_sub_f16_e32 v40, v9, v40
	v_add_f16_e32 v43, v43, v9
	v_mul_f16_e32 v15, 0x3a52, v15
	v_mul_f16_e32 v46, 0xb846, v46
	;; [unrolled: 1-line block ×3, first 2 shown]
	v_fmamk_f16 v50, v11, 0x2b26, v8
	v_sub_f16_e32 v12, v45, v12
	v_sub_f16_e32 v9, v13, v9
	v_fma_f16 v10, v7, 0x39e0, -v10
	v_fma_f16 v7, v7, 0xb9e0, -v8
	v_mul_f16_e32 v8, 0x2b26, v41
	v_fma_f16 v11, v12, 0xb9e0, -v15
	v_fma_f16 v13, v6, 0x3b00, -v49
	v_mul_f16_e32 v6, 0xbb00, v6
	v_add_f16_e32 v50, v50, v4
	v_fma_f16 v8, v12, 0x39e0, -v8
	v_fma_f16 v12, v9, 0x3b00, -v46
	v_mul_f16_e32 v9, 0xbb00, v9
	v_fmac_f16_e32 v6, 0xb574, v5
	v_fmamk_f16 v60, v5, 0x3574, v49
	v_add_f16_e32 v5, v10, v4
	v_add_f16_e32 v4, v7, v4
	v_fmac_f16_e32 v9, 0xb574, v40
	v_add_f16_e32 v7, v8, v47
	v_add_f16_e32 v8, v11, v47
	v_fmac_f16_e32 v6, 0x370e, v48
	v_fmac_f16_e32 v12, 0x370e, v43
	;; [unrolled: 1-line block ×4, first 2 shown]
	v_fmamk_f16 v51, v41, 0x2b26, v15
	v_add_f16_e32 v10, v6, v4
	v_fmamk_f16 v61, v40, 0x3574, v46
	v_sub_f16_e32 v11, v8, v9
	v_add_f16_e32 v14, v12, v7
	v_sub_f16_e32 v7, v7, v12
	v_sub_f16_e32 v4, v4, v6
	v_add_f16_e32 v6, v9, v8
	v_pack_b32_f16 v10, v10, v11
	v_sub_f16_e32 v11, v5, v13
	v_add_f16_e32 v5, v13, v5
	v_add_f16_e32 v51, v51, v47
	v_fmac_f16_e32 v60, 0x370e, v48
	v_fmac_f16_e32 v61, 0x370e, v43
	v_pack_b32_f16 v4, v4, v6
	v_pack_b32_f16 v5, v5, v7
	;; [unrolled: 1-line block ×3, first 2 shown]
	v_add_f16_e32 v62, v60, v50
	v_sub_f16_e32 v63, v51, v61
	ds_write2_b32 v217, v5, v4 offset0:28 offset1:35
	v_sub_f16_e32 v4, v50, v60
	v_add_f16_e32 v5, v61, v51
	v_pack_b32_f16 v62, v62, v63
	ds_write2_b32 v217, v10, v11 offset0:14 offset1:21
	v_pack_b32_f16 v4, v4, v5
	v_mul_lo_u16 v5, 0x4f, v58
	ds_write2_b32 v217, v42, v62 offset1:7
	ds_write_b32 v217, v4 offset:168
	v_lshrrev_b16 v5, 8, v5
	s_waitcnt lgkmcnt(0)
	s_barrier
	buffer_gl0_inv
	v_sub_nc_u16 v6, v52, v5
	v_lshrrev_b16 v6, 1, v6
	v_and_b32_e32 v6, 0x7f, v6
	v_add_nc_u16 v5, v6, v5
	v_lshrrev_b16 v4, 5, v5
	v_mul_lo_u16 v4, v4, 49
	v_sub_nc_u16 v40, v52, v4
	v_mul_lo_u16 v4, 0x4f, v59
	v_and_b32_e32 v138, 0xff, v40
	v_lshrrev_b16 v4, 8, v4
	v_lshlrev_b32_e32 v1, 2, v138
	v_sub_nc_u16 v5, v53, v4
	v_add_nc_u32_e32 v2, 0x800, v1
	v_lshrrev_b16 v5, 1, v5
	v_and_b32_e32 v5, 0x7f, v5
	v_add_nc_u16 v4, v5, v4
	v_mul_lo_u16 v5, 0x4f, v57
	v_lshrrev_b16 v4, 5, v4
	v_lshrrev_b16 v5, 8, v5
	v_mul_lo_u16 v4, v4, 49
	v_sub_nc_u16 v6, v54, v5
	v_sub_nc_u16 v41, v53, v4
	v_lshrrev_b16 v6, 1, v6
	v_and_b32_e32 v232, 0xff, v41
	v_and_b32_e32 v6, 0x7f, v6
	v_add_nc_u16 v5, v6, v5
	v_mov_b32_e32 v6, 0x4e5f
	v_lshrrev_b16 v5, 5, v5
	v_mul_u32_u24_sdwa v7, v55, v6 dst_sel:DWORD dst_unused:UNUSED_PAD src0_sel:WORD_0 src1_sel:DWORD
	v_mul_u32_u24_sdwa v4, v56, v6 dst_sel:DWORD dst_unused:UNUSED_PAD src0_sel:WORD_0 src1_sel:DWORD
	v_mul_lo_u16 v5, v5, 49
	v_lshrrev_b32_e32 v7, 16, v7
	v_lshrrev_b32_e32 v4, 16, v4
	v_sub_nc_u16 v42, v54, v5
	v_sub_nc_u16 v8, v55, v7
	;; [unrolled: 1-line block ×3, first 2 shown]
	v_and_b32_e32 v80, 0xff, v42
	v_lshrrev_b16 v8, 1, v8
	v_lshrrev_b16 v6, 1, v6
	v_lshlrev_b32_e32 v3, 2, v80
	v_add_nc_u16 v7, v8, v7
	v_add_nc_u16 v4, v6, v4
	v_add_nc_u32_e32 v8, 0x1800, v3
	v_lshrrev_b16 v5, 5, v7
	v_lshrrev_b16 v4, 5, v4
	ds_read2_b32 v[6:7], v193 offset0:38 offset1:87
	v_mul_lo_u16 v5, v5, 49
	v_mul_lo_u16 v4, v4, 49
	v_sub_nc_u16 v86, v55, v5
	v_sub_nc_u16 v85, v56, v4
	v_mad_u64_u32 v[4:5], null, v27, 24, s[2:3]
	s_clause 0x1
	global_load_dwordx2 v[169:170], v[4:5], off offset:184
	global_load_dwordx4 v[16:19], v[4:5], off offset:168
	ds_read2_b32 v[14:15], v182 offset0:10 offset1:59
	ds_read2_b32 v[59:60], v187 offset0:174 offset1:223
	s_waitcnt lgkmcnt(2)
	v_lshrrev_b32_e32 v12, 16, v7
	ds_read2_b32 v[62:63], v184 offset0:92 offset1:141
	v_mul_lo_u16 v40, v85, 24
	v_and_b32_e32 v42, 0xffff, v40
	s_waitcnt lgkmcnt(2)
	v_lshrrev_b32_e32 v43, 16, v14
	s_waitcnt vmcnt(1)
	v_mul_f16_sdwa v44, v14, v170 dst_sel:DWORD dst_unused:UNUSED_PAD src0_sel:DWORD src1_sel:WORD_1
	s_waitcnt vmcnt(0)
	v_mul_f16_sdwa v13, v7, v16 dst_sel:DWORD dst_unused:UNUSED_PAD src0_sel:DWORD src1_sel:WORD_1
	s_waitcnt lgkmcnt(0)
	v_mul_f16_sdwa v46, v62, v19 dst_sel:DWORD dst_unused:UNUSED_PAD src0_sel:DWORD src1_sel:WORD_1
	v_fmac_f16_e32 v44, v43, v170
	v_fmac_f16_e32 v13, v12, v16
	v_mul_f16_sdwa v12, v12, v16 dst_sel:DWORD dst_unused:UNUSED_PAD src0_sel:DWORD src1_sel:WORD_1
	v_mul_f16_sdwa v43, v43, v170 dst_sel:DWORD dst_unused:UNUSED_PAD src0_sel:DWORD src1_sel:WORD_1
	v_add_f16_e32 v113, v13, v44
	v_fma_f16 v12, v7, v16, -v12
	v_fma_f16 v14, v14, v170, -v43
	v_sub_f16_e32 v88, v13, v44
	v_add_f16_e32 v7, v12, v14
	v_sub_f16_e32 v87, v12, v14
	v_lshrrev_b32_e32 v12, 16, v59
	v_mul_f16_sdwa v14, v59, v17 dst_sel:DWORD dst_unused:UNUSED_PAD src0_sel:DWORD src1_sel:WORD_1
	v_mul_f16_sdwa v43, v12, v17 dst_sel:DWORD dst_unused:UNUSED_PAD src0_sel:DWORD src1_sel:WORD_1
	v_fmac_f16_e32 v14, v12, v17
	ds_read2_b32 v[12:13], v192 offset0:130 offset1:179
	v_fma_f16 v43, v59, v17, -v43
	s_waitcnt lgkmcnt(0)
	v_lshrrev_b32_e32 v44, 16, v13
	v_mul_f16_sdwa v45, v13, v169 dst_sel:DWORD dst_unused:UNUSED_PAD src0_sel:DWORD src1_sel:WORD_1
	v_fmac_f16_e32 v45, v44, v169
	v_mul_f16_sdwa v44, v44, v169 dst_sel:DWORD dst_unused:UNUSED_PAD src0_sel:DWORD src1_sel:WORD_1
	v_add_f16_e32 v117, v14, v45
	v_fma_f16 v13, v13, v169, -v44
	v_sub_f16_e32 v116, v14, v45
	v_lshrrev_b32_e32 v45, 16, v62
	v_add_f16_e32 v47, v117, v113
	v_add_f16_e32 v114, v43, v13
	v_sub_f16_e32 v115, v43, v13
	ds_read2_b32 v[13:14], v137 offset0:84 offset1:133
	v_fmac_f16_e32 v46, v45, v19
	v_mul_f16_sdwa v45, v45, v19 dst_sel:DWORD dst_unused:UNUSED_PAD src0_sel:DWORD src1_sel:WORD_1
	s_waitcnt lgkmcnt(0)
	v_lshrrev_b32_e32 v43, 16, v14
	v_mul_f16_sdwa v44, v14, v18 dst_sel:DWORD dst_unused:UNUSED_PAD src0_sel:DWORD src1_sel:WORD_1
	v_fmac_f16_e32 v44, v43, v18
	v_mul_f16_sdwa v43, v43, v18 dst_sel:DWORD dst_unused:UNUSED_PAD src0_sel:DWORD src1_sel:WORD_1
	v_fma_f16 v14, v14, v18, -v43
	v_fma_f16 v43, v62, v19, -v45
	ds_read2_b32 v[61:62], v132 offset1:49
	v_add_f16_e32 v45, v14, v43
	v_sub_f16_e32 v14, v43, v14
	v_add_f16_e32 v43, v44, v46
	v_sub_f16_e32 v44, v46, v44
	;; [unrolled: 2-line block ×3, first 2 shown]
	v_sub_f16_e32 v126, v87, v14
	v_add_f16_e32 v47, v43, v47
	v_sub_f16_e32 v128, v43, v117
	v_add_f16_e32 v46, v45, v46
	v_sub_f16_e32 v127, v88, v44
	s_waitcnt lgkmcnt(0)
	v_add_f16_sdwa v118, v47, v61 dst_sel:DWORD dst_unused:UNUSED_PAD src0_sel:DWORD src1_sel:WORD_1
	v_add_f16_e32 v61, v46, v61
	v_lshlrev_b32_e32 v48, 16, v118
	v_fmac_f16_e32 v118, 0xbcab, v47
	v_sub_f16_e32 v47, v14, v115
	v_or_b32_sdwa v122, v48, v61 dst_sel:DWORD dst_unused:UNUSED_PAD src0_sel:DWORD src1_sel:WORD_0
	v_fmac_f16_e32 v61, 0xbcab, v46
	v_sub_f16_e32 v46, v7, v45
	v_sub_f16_e32 v45, v113, v43
	v_add_f16_e32 v43, v14, v115
	v_add_f16_e32 v14, v44, v116
	v_sub_f16_e32 v48, v44, v116
	v_mul_f16_e32 v205, 0x3a52, v46
	v_mul_f16_e32 v131, 0x3a52, v45
	;; [unrolled: 1-line block ×3, first 2 shown]
	v_add_f16_e32 v125, v14, v88
	v_mul_f16_e32 v130, 0xb846, v48
	v_fmamk_f16 v14, v129, 0x2b26, v205
	v_add_f16_e32 v124, v43, v87
	v_fmamk_f16 v123, v126, 0x3574, v203
	v_mad_u64_u32 v[44:45], null, v138, 24, s[2:3]
	v_add_f16_e32 v119, v14, v61
	v_fmamk_f16 v14, v128, 0x2b26, v131
	v_fmamk_f16 v121, v127, 0x3574, v130
	v_fmac_f16_e32 v123, 0x370e, v124
	v_mad_u64_u32 v[46:47], null, v232, 24, s[2:3]
	v_add_f16_e32 v120, v14, v118
	v_fmac_f16_e32 v121, 0x370e, v125
	v_mad_u64_u32 v[48:49], null, v80, 24, s[2:3]
	v_sub_f16_e32 v87, v115, v87
	v_sub_f16_e32 v43, v120, v123
	v_add_f16_e32 v14, v121, v119
	v_sub_f16_e32 v88, v116, v88
	v_sub_f16_e32 v7, v114, v7
	;; [unrolled: 1-line block ×3, first 2 shown]
	v_mul_f16_e32 v114, 0x2b26, v129
	v_pack_b32_f16 v137, v14, v43
	v_mul_lo_u16 v14, v86, 24
	v_mul_f16_e32 v115, 0x2b26, v128
	v_fma_f16 v116, v87, 0x3b00, -v203
	v_mul_f16_e32 v87, 0xbb00, v87
	v_fma_f16 v117, v88, 0x3b00, -v130
	v_and_b32_e32 v14, 0xffff, v14
	v_mul_f16_e32 v88, 0xbb00, v88
	v_fma_f16 v114, v7, 0x39e0, -v114
	v_fma_f16 v7, v7, 0xb9e0, -v205
	;; [unrolled: 1-line block ×3, first 2 shown]
	v_add_co_u32 v40, s0, s2, v14
	v_add_co_ci_u32_e64 v41, null, s3, 0, s0
	v_add_co_u32 v42, s0, s2, v42
	v_add_co_ci_u32_e64 v43, null, s3, 0, s0
	ds_read_b32 v14, v132 offset:9408
	s_clause 0x9
	global_load_dwordx2 v[111:112], v[44:45], off offset:184
	global_load_dwordx4 v[56:59], v[44:45], off offset:168
	global_load_dwordx2 v[159:160], v[46:47], off offset:184
	global_load_dwordx4 v[52:55], v[46:47], off offset:168
	;; [unrolled: 2-line block ×5, first 2 shown]
	v_fma_f16 v113, v113, 0xb9e0, -v131
	v_fmac_f16_e32 v87, 0xb574, v126
	v_fmac_f16_e32 v88, 0xb574, v127
	v_add_f16_e32 v7, v7, v61
	v_add_f16_e32 v114, v114, v61
	;; [unrolled: 1-line block ×3, first 2 shown]
	v_fmac_f16_e32 v87, 0x370e, v124
	v_fmac_f16_e32 v88, 0x370e, v125
	v_add_f16_e32 v61, v115, v118
	v_fmac_f16_e32 v116, 0x370e, v124
	v_fmac_f16_e32 v117, 0x370e, v125
	v_sub_f16_e32 v118, v113, v87
	v_add_f16_e32 v115, v88, v7
	ds_read2_b32 v[133:134], v193 offset0:136 offset1:185
	ds_read2_b32 v[135:136], v183 offset0:54 offset1:103
	ds_read2_b32 v[195:196], v233 offset0:100 offset1:149
	ds_read2_b32 v[218:219], v132 offset0:98 offset1:147
	ds_read2_b32 v[220:221], v186 offset0:16 offset1:65
	ds_read2_b32 v[222:223], v184 offset0:190 offset1:239
	ds_read2_b32 v[224:225], v182 offset0:108 offset1:157
	ds_read2_b32 v[226:227], v191 offset0:106 offset1:155
	ds_read2_b32 v[228:229], v183 offset0:152 offset1:201
	ds_read2_b32 v[230:231], v188 offset0:70 offset1:119
	ds_read2_b32 v[70:71], v132 offset0:196 offset1:245
	ds_read2_b32 v[76:77], v186 offset0:114 offset1:163
	ds_read2_b32 v[74:75], v192 offset0:32 offset1:81
	ds_read2_b32 v[72:73], v182 offset0:206 offset1:255
	ds_read2_b32 v[68:69], v187 offset0:76 offset1:125
	ds_read2_b32 v[66:67], v185 offset0:122 offset1:171
	ds_read2_b32 v[64:65], v188 offset0:168 offset1:217
	s_waitcnt vmcnt(0) lgkmcnt(0)
	s_barrier
	buffer_gl0_inv
	ds_write2_b32 v132, v122, v137 offset1:49
	v_pack_b32_f16 v115, v115, v118
	v_sub_f16_e32 v118, v114, v117
	v_add_f16_e32 v122, v116, v61
	v_add_f16_e32 v114, v117, v114
	v_sub_f16_e32 v61, v61, v116
	v_sub_f16_e32 v7, v7, v88
	v_add_f16_e32 v87, v87, v113
	v_lshrrev_b32_e32 v113, 16, v15
	v_pack_b32_f16 v118, v118, v122
	v_pack_b32_f16 v61, v114, v61
	v_lshrrev_b32_e32 v116, 16, v135
	v_pack_b32_f16 v7, v7, v87
	v_mul_f16_sdwa v114, v113, v170 dst_sel:DWORD dst_unused:UNUSED_PAD src0_sel:DWORD src1_sel:WORD_1
	v_lshrrev_b32_e32 v87, 16, v63
	ds_write2_b32 v132, v115, v118 offset0:98 offset1:147
	v_mul_f16_sdwa v115, v133, v16 dst_sel:DWORD dst_unused:UNUSED_PAD src0_sel:DWORD src1_sel:WORD_1
	ds_write2_b32 v132, v61, v7 offset0:196 offset1:245
	v_lshrrev_b32_e32 v7, 16, v60
	v_fma_f16 v114, v15, v170, -v114
	v_mul_f16_sdwa v15, v15, v170 dst_sel:DWORD dst_unused:UNUSED_PAD src0_sel:DWORD src1_sel:WORD_1
	v_mul_f16_sdwa v88, v87, v19 dst_sel:DWORD dst_unused:UNUSED_PAD src0_sel:DWORD src1_sel:WORD_1
	v_lshrrev_b32_e32 v118, 16, v195
	v_mul_f16_sdwa v61, v7, v17 dst_sel:DWORD dst_unused:UNUSED_PAD src0_sel:DWORD src1_sel:WORD_1
	v_mul_f16_sdwa v117, v135, v18 dst_sel:DWORD dst_unused:UNUSED_PAD src0_sel:DWORD src1_sel:WORD_1
	v_fmac_f16_e32 v15, v113, v170
	v_lshrrev_b32_e32 v113, 16, v133
	v_fma_f16 v88, v63, v19, -v88
	v_fma_f16 v61, v60, v17, -v61
	v_mul_f16_sdwa v60, v60, v17 dst_sel:DWORD dst_unused:UNUSED_PAD src0_sel:DWORD src1_sel:WORD_1
	v_mul_f16_sdwa v63, v63, v19 dst_sel:DWORD dst_unused:UNUSED_PAD src0_sel:DWORD src1_sel:WORD_1
	v_fmac_f16_e32 v115, v113, v16
	v_mul_f16_sdwa v113, v113, v16 dst_sel:DWORD dst_unused:UNUSED_PAD src0_sel:DWORD src1_sel:WORD_1
	v_fmac_f16_e32 v117, v116, v18
	v_fmac_f16_e32 v60, v7, v17
	v_sub_f16_e32 v7, v119, v121
	v_mul_f16_sdwa v119, v195, v169 dst_sel:DWORD dst_unused:UNUSED_PAD src0_sel:DWORD src1_sel:WORD_1
	v_fmac_f16_e32 v63, v87, v19
	v_add_f16_e32 v87, v123, v120
	v_mul_f16_sdwa v116, v116, v18 dst_sel:DWORD dst_unused:UNUSED_PAD src0_sel:DWORD src1_sel:WORD_1
	v_fma_f16 v113, v133, v16, -v113
	v_fmac_f16_e32 v119, v118, v169
	v_mul_f16_sdwa v118, v118, v169 dst_sel:DWORD dst_unused:UNUSED_PAD src0_sel:DWORD src1_sel:WORD_1
	v_add_f16_e32 v120, v115, v15
	v_fma_f16 v116, v135, v18, -v116
	v_add_f16_e32 v122, v117, v63
	v_add_f16_e32 v121, v60, v119
	v_fma_f16 v118, v195, v169, -v118
	v_add_f16_e32 v124, v113, v114
	v_add_f16_e32 v126, v116, v88
	v_pack_b32_f16 v7, v7, v87
	v_add_f16_e32 v123, v121, v120
	v_add_f16_e32 v125, v61, v118
	v_sub_f16_e32 v61, v61, v118
	v_sub_f16_e32 v15, v115, v15
	;; [unrolled: 1-line block ×3, first 2 shown]
	v_add_f16_e32 v123, v122, v123
	v_add_f16_e32 v127, v125, v124
	v_sub_f16_e32 v63, v63, v117
	v_sub_f16_e32 v115, v121, v120
	;; [unrolled: 1-line block ×3, first 2 shown]
	v_add_f16_sdwa v128, v123, v62 dst_sel:DWORD dst_unused:UNUSED_PAD src0_sel:DWORD src1_sel:WORD_1
	v_add_f16_e32 v127, v126, v127
	v_add_nc_u32_e32 v205, 0xc00, v1
	buffer_store_dword v2, off, s[20:23], 0 offset:220 ; 4-byte Folded Spill
	v_add_nc_u32_e32 v203, 0x1400, v3
	v_lshlrev_b32_e32 v87, 16, v128
	v_add_f16_e32 v62, v127, v62
	v_fmac_f16_e32 v128, 0xbcab, v123
	buffer_store_dword v1, off, s[20:23], 0 offset:216 ; 4-byte Folded Spill
	s_load_dwordx2 s[0:1], s[4:5], 0x38
	v_or_b32_sdwa v87, v87, v62 dst_sel:DWORD dst_unused:UNUSED_PAD src0_sel:DWORD src1_sel:WORD_0
	v_fmac_f16_e32 v62, 0xbcab, v127
	ds_write2_b32 v193, v7, v87 offset0:38 offset1:87
	v_sub_f16_e32 v7, v113, v114
	v_sub_f16_e32 v87, v88, v116
	;; [unrolled: 1-line block ×6, first 2 shown]
	v_add_f16_e32 v118, v87, v61
	v_mul_f16_e32 v113, 0x3a52, v113
	v_sub_f16_e32 v119, v87, v61
	v_sub_f16_e32 v87, v7, v87
	;; [unrolled: 1-line block ×3, first 2 shown]
	v_add_f16_e32 v7, v118, v7
	v_add_f16_e32 v118, v63, v60
	v_sub_f16_e32 v120, v63, v60
	v_sub_f16_e32 v60, v60, v15
	v_fmamk_f16 v122, v114, 0x2b26, v113
	v_mul_f16_e32 v114, 0x2b26, v114
	v_sub_f16_e32 v63, v15, v63
	v_add_f16_e32 v15, v118, v15
	v_mul_f16_e32 v118, 0xb846, v119
	v_mul_f16_e32 v119, 0xb846, v120
	;; [unrolled: 1-line block ×3, first 2 shown]
	v_fma_f16 v113, v88, 0xb9e0, -v113
	v_fma_f16 v88, v88, 0x39e0, -v114
	v_mul_f16_e32 v114, 0x2b26, v117
	v_mul_f16_e32 v120, 0xbb00, v61
	v_fmac_f16_e32 v121, 0xb574, v63
	v_fmamk_f16 v63, v63, 0x3574, v119
	v_fma_f16 v60, v60, 0x3b00, -v119
	v_fma_f16 v114, v115, 0x39e0, -v114
	;; [unrolled: 1-line block ×3, first 2 shown]
	v_mul_f16_e32 v116, 0x3a52, v116
	v_fmac_f16_e32 v120, 0xb574, v87
	v_fmamk_f16 v87, v87, 0x3574, v118
	v_add_f16_e32 v122, v122, v62
	v_fmac_f16_e32 v63, 0x370e, v15
	v_add_f16_e32 v113, v113, v62
	v_fmac_f16_e32 v121, 0x370e, v15
	;; [unrolled: 2-line block ×4, first 2 shown]
	v_fmamk_f16 v123, v117, 0x2b26, v116
	v_fmac_f16_e32 v87, 0x370e, v7
	v_fma_f16 v116, v115, 0xb9e0, -v116
	v_fmac_f16_e32 v120, 0x370e, v7
	v_sub_f16_e32 v7, v62, v60
	v_add_f16_e32 v60, v60, v62
	v_add_f16_e32 v62, v61, v15
	v_sub_f16_e32 v15, v15, v61
	v_add_f16_e32 v123, v123, v128
	v_add_f16_e32 v116, v116, v128
	;; [unrolled: 1-line block ×3, first 2 shown]
	v_pack_b32_f16 v7, v7, v62
	v_pack_b32_f16 v15, v60, v15
	v_sub_f16_e32 v60, v122, v63
	v_add_f16_e32 v61, v87, v123
	v_sub_f16_e32 v125, v123, v87
	v_lshrrev_b32_e32 v87, 16, v196
	ds_write2_b32 v191, v7, v15 offset0:106 offset1:155
	v_sub_f16_e32 v7, v113, v121
	v_add_f16_e32 v15, v120, v116
	v_pack_b32_f16 v124, v124, v125
	v_add_f16_e32 v125, v121, v113
	v_sub_f16_e32 v126, v116, v120
	v_pack_b32_f16 v7, v7, v15
	v_pack_b32_f16 v15, v60, v61
	v_lshrrev_b32_e32 v61, 16, v136
	v_pack_b32_f16 v125, v125, v126
	ds_write2_b32 v187, v7, v15 offset0:76 offset1:125
	v_lshrrev_b32_e32 v7, 16, v134
	ds_write2_b32 v193, v124, v125 offset0:136 offset1:185
	v_mul_f16_sdwa v113, v196, v111 dst_sel:DWORD dst_unused:UNUSED_PAD src0_sel:DWORD src1_sel:WORD_1
	v_mul_f16_sdwa v60, v134, v56 dst_sel:DWORD dst_unused:UNUSED_PAD src0_sel:DWORD src1_sel:WORD_1
	v_mul_f16_sdwa v63, v136, v58 dst_sel:DWORD dst_unused:UNUSED_PAD src0_sel:DWORD src1_sel:WORD_1
	v_mul_f16_sdwa v15, v7, v56 dst_sel:DWORD dst_unused:UNUSED_PAD src0_sel:DWORD src1_sel:WORD_1
	v_mul_f16_sdwa v62, v61, v58 dst_sel:DWORD dst_unused:UNUSED_PAD src0_sel:DWORD src1_sel:WORD_1
	v_mul_f16_sdwa v88, v87, v111 dst_sel:DWORD dst_unused:UNUSED_PAD src0_sel:DWORD src1_sel:WORD_1
	v_fmac_f16_e32 v60, v7, v56
	v_fmac_f16_e32 v63, v61, v58
	v_lshrrev_b32_e32 v7, 16, v224
	v_mul_f16_sdwa v61, v224, v112 dst_sel:DWORD dst_unused:UNUSED_PAD src0_sel:DWORD src1_sel:WORD_1
	v_fma_f16 v15, v134, v56, -v15
	v_fmac_f16_e32 v113, v87, v111
	v_fma_f16 v88, v196, v111, -v88
	v_fma_f16 v62, v136, v58, -v62
	v_fmac_f16_e32 v61, v7, v112
	v_mul_f16_sdwa v7, v7, v112 dst_sel:DWORD dst_unused:UNUSED_PAD src0_sel:DWORD src1_sel:WORD_1
	v_add_f16_e32 v115, v60, v61
	v_fma_f16 v7, v224, v112, -v7
	v_sub_f16_e32 v116, v60, v61
	v_add_f16_e32 v87, v15, v7
	v_sub_f16_e32 v114, v15, v7
	v_lshrrev_b32_e32 v7, 16, v220
	v_mul_f16_sdwa v15, v220, v57 dst_sel:DWORD dst_unused:UNUSED_PAD src0_sel:DWORD src1_sel:WORD_1
	v_fmac_f16_e32 v15, v7, v57
	v_mul_f16_sdwa v7, v7, v57 dst_sel:DWORD dst_unused:UNUSED_PAD src0_sel:DWORD src1_sel:WORD_1
	v_add_f16_e32 v118, v15, v113
	v_fma_f16 v7, v220, v57, -v7
	v_sub_f16_e32 v113, v15, v113
	v_mul_f16_sdwa v15, v222, v59 dst_sel:DWORD dst_unused:UNUSED_PAD src0_sel:DWORD src1_sel:WORD_1
	v_add_f16_e32 v117, v7, v88
	v_sub_f16_e32 v88, v7, v88
	v_lshrrev_b32_e32 v7, 16, v222
	v_fmac_f16_e32 v15, v7, v59
	v_mul_f16_sdwa v7, v7, v59 dst_sel:DWORD dst_unused:UNUSED_PAD src0_sel:DWORD src1_sel:WORD_1
	v_add_f16_e32 v61, v63, v15
	v_fma_f16 v7, v222, v59, -v7
	v_sub_f16_e32 v15, v15, v63
	v_add_f16_e32 v63, v117, v87
	v_mov_b32_e32 v222, v233
	v_sub_f16_e32 v122, v61, v118
	v_add_f16_e32 v60, v62, v7
	v_sub_f16_e32 v7, v7, v62
	v_add_f16_e32 v62, v118, v115
	v_sub_f16_e32 v125, v15, v113
	v_sub_f16_e32 v126, v116, v15
	v_add_f16_e32 v63, v60, v63
	v_sub_f16_e32 v123, v7, v88
	v_add_f16_e32 v62, v61, v62
	v_sub_f16_e32 v124, v114, v7
	v_mul_f16_e32 v125, 0xb846, v125
	v_add_f16_e32 v120, v63, v218
	v_mul_f16_e32 v123, 0xb846, v123
	v_add_f16_sdwa v119, v62, v218 dst_sel:DWORD dst_unused:UNUSED_PAD src0_sel:DWORD src1_sel:WORD_1
	v_mov_b32_e32 v22, v222
	v_lshlrev_b32_e32 v121, 16, v119
	v_fmac_f16_e32 v119, 0xbcab, v62
	v_sub_f16_e32 v62, v87, v60
	v_sub_f16_e32 v87, v117, v87
	v_or_b32_sdwa v121, v121, v120 dst_sel:DWORD dst_unused:UNUSED_PAD src0_sel:DWORD src1_sel:WORD_0
	v_fmac_f16_e32 v120, 0xbcab, v63
	v_sub_f16_e32 v63, v60, v117
	v_sub_f16_e32 v60, v115, v61
	v_add_f16_e32 v61, v7, v88
	v_add_f16_e32 v7, v15, v113
	v_mul_f16_e32 v62, 0x3a52, v62
	v_sub_f16_e32 v88, v88, v114
	v_sub_f16_e32 v113, v113, v116
	v_mul_f16_e32 v129, 0x3a52, v60
	v_add_f16_e32 v128, v7, v116
	v_fmamk_f16 v7, v63, 0x2b26, v62
	v_sub_f16_e32 v115, v118, v115
	v_mul_f16_e32 v63, 0x2b26, v63
	v_mul_f16_e32 v116, 0xbb00, v88
	v_fma_f16 v117, v113, 0x3b00, -v125
	v_mul_f16_e32 v113, 0xbb00, v113
	v_add_f16_e32 v127, v61, v114
	v_fma_f16 v63, v87, 0x39e0, -v63
	v_fma_f16 v62, v87, 0xb9e0, -v62
	v_mul_f16_e32 v87, 0x2b26, v122
	v_fma_f16 v114, v115, 0xb9e0, -v129
	v_fmac_f16_e32 v116, 0xb574, v124
	v_fmac_f16_e32 v113, 0xb574, v126
	v_add_f16_e32 v62, v62, v120
	v_fma_f16 v87, v115, 0x39e0, -v87
	v_fma_f16 v115, v88, 0x3b00, -v123
	v_add_f16_e32 v114, v114, v119
	v_fmac_f16_e32 v116, 0x370e, v127
	v_fmac_f16_e32 v113, 0x370e, v128
	v_fmamk_f16 v15, v122, 0x2b26, v129
	v_add_f16_e32 v63, v63, v120
	v_add_f16_e32 v87, v87, v119
	v_fmac_f16_e32 v115, 0x370e, v127
	v_fmac_f16_e32 v117, 0x370e, v128
	v_add_f16_e32 v88, v113, v62
	v_sub_f16_e32 v118, v114, v116
	v_add_f16_e32 v15, v15, v119
	v_add_f16_e32 v119, v115, v87
	v_sub_f16_e32 v87, v87, v115
	v_sub_f16_e32 v62, v62, v113
	v_pack_b32_f16 v118, v88, v118
	v_sub_f16_e32 v88, v63, v117
	v_add_f16_e32 v63, v117, v63
	v_add_f16_e32 v113, v116, v114
	v_mul_f16_sdwa v115, v223, v55 dst_sel:DWORD dst_unused:UNUSED_PAD src0_sel:DWORD src1_sel:WORD_1
	v_lshrrev_b32_e32 v116, 16, v225
	v_pack_b32_f16 v119, v88, v119
	v_pack_b32_f16 v63, v63, v87
	;; [unrolled: 1-line block ×3, first 2 shown]
	v_mul_f16_sdwa v87, v221, v53 dst_sel:DWORD dst_unused:UNUSED_PAD src0_sel:DWORD src1_sel:WORD_1
	v_lshrrev_b32_e32 v113, 16, v223
	ds_write2_b32 v205, v118, v119 offset0:16 offset1:65
	v_mul_f16_sdwa v117, v116, v160 dst_sel:DWORD dst_unused:UNUSED_PAD src0_sel:DWORD src1_sel:WORD_1
	ds_write2_b32 v205, v63, v62 offset0:114 offset1:163
	v_lshrrev_b32_e32 v62, 16, v221
	v_mul_f16_sdwa v114, v113, v55 dst_sel:DWORD dst_unused:UNUSED_PAD src0_sel:DWORD src1_sel:WORD_1
	v_fmac_f16_e32 v115, v113, v55
	v_mul_f16_sdwa v113, v226, v52 dst_sel:DWORD dst_unused:UNUSED_PAD src0_sel:DWORD src1_sel:WORD_1
	v_mul_f16_sdwa v118, v225, v160 dst_sel:DWORD dst_unused:UNUSED_PAD src0_sel:DWORD src1_sel:WORD_1
	;; [unrolled: 1-line block ×3, first 2 shown]
	v_fmac_f16_e32 v87, v62, v53
	v_lshrrev_b32_e32 v62, 16, v226
	v_fmamk_f16 v60, v126, 0x3574, v125
	v_fmamk_f16 v61, v124, 0x3574, v123
	v_fma_f16 v117, v225, v160, -v117
	v_fmac_f16_e32 v118, v116, v160
	v_fmac_f16_e32 v113, v62, v52
	v_mul_f16_sdwa v62, v62, v52 dst_sel:DWORD dst_unused:UNUSED_PAD src0_sel:DWORD src1_sel:WORD_1
	v_add_f16_e32 v7, v7, v120
	v_fmac_f16_e32 v60, 0x370e, v128
	v_fmac_f16_e32 v61, 0x370e, v127
	v_mul_f16_sdwa v119, v230, v159 dst_sel:DWORD dst_unused:UNUSED_PAD src0_sel:DWORD src1_sel:WORD_1
	v_fma_f16 v62, v226, v52, -v62
	v_fma_f16 v63, v221, v53, -v63
	v_add_f16_e32 v130, v60, v7
	v_sub_f16_e32 v131, v15, v61
	v_fma_f16 v114, v223, v55, -v114
	v_add_f16_e32 v116, v62, v117
	v_sub_f16_e32 v62, v62, v117
	v_add_f16_e32 v117, v113, v118
	v_sub_f16_e32 v113, v113, v118
	v_lshrrev_b32_e32 v118, 16, v230
	v_pack_b32_f16 v130, v130, v131
	v_fmac_f16_e32 v119, v118, v159
	v_mul_f16_sdwa v118, v118, v159 dst_sel:DWORD dst_unused:UNUSED_PAD src0_sel:DWORD src1_sel:WORD_1
	ds_write2_b32 v2, v121, v130 offset0:174 offset1:223
	v_mul_f16_sdwa v121, v228, v54 dst_sel:DWORD dst_unused:UNUSED_PAD src0_sel:DWORD src1_sel:WORD_1
	v_lshlrev_b32_e32 v2, 2, v232
	v_fma_f16 v118, v230, v159, -v118
	v_add_nc_u32_e32 v223, 0x1000, v2
	buffer_store_dword v2, off, s[20:23], 0 offset:212 ; 4-byte Folded Spill
	v_add_f16_e32 v120, v63, v118
	v_sub_f16_e32 v63, v63, v118
	v_add_f16_e32 v118, v87, v119
	v_sub_f16_e32 v87, v87, v119
	v_lshrrev_b32_e32 v119, 16, v228
	v_add_f16_e32 v123, v120, v116
	v_fmac_f16_e32 v121, v119, v54
	v_mul_f16_sdwa v119, v119, v54 dst_sel:DWORD dst_unused:UNUSED_PAD src0_sel:DWORD src1_sel:WORD_1
	v_fma_f16 v119, v228, v54, -v119
	v_add_f16_e32 v122, v119, v114
	v_sub_f16_e32 v114, v114, v119
	v_add_f16_e32 v119, v121, v115
	v_sub_f16_e32 v115, v115, v121
	v_add_f16_e32 v121, v118, v117
	v_add_f16_e32 v123, v122, v123
	;; [unrolled: 1-line block ×3, first 2 shown]
	v_sub_f16_e32 v128, v114, v63
	v_sub_f16_e32 v114, v62, v114
	v_add_f16_e32 v121, v119, v121
	v_add_f16_e32 v125, v123, v219
	v_sub_f16_e32 v130, v115, v87
	v_add_f16_e32 v127, v127, v62
	v_mul_f16_e32 v128, 0xb846, v128
	v_add_f16_sdwa v124, v121, v219 dst_sel:DWORD dst_unused:UNUSED_PAD src0_sel:DWORD src1_sel:WORD_1
	v_sub_f16_e32 v62, v63, v62
	v_add_f16_e32 v129, v115, v87
	v_mul_f16_e32 v130, 0xb846, v130
	v_sub_f16_e32 v63, v87, v113
	v_lshlrev_b32_e32 v126, 16, v124
	v_fmac_f16_e32 v124, 0xbcab, v121
	v_sub_f16_e32 v121, v116, v122
	v_sub_f16_e32 v122, v122, v120
	;; [unrolled: 1-line block ×3, first 2 shown]
	v_or_b32_sdwa v126, v126, v125 dst_sel:DWORD dst_unused:UNUSED_PAD src0_sel:DWORD src1_sel:WORD_0
	v_fmac_f16_e32 v125, 0xbcab, v123
	v_sub_f16_e32 v123, v117, v119
	v_sub_f16_e32 v119, v119, v118
	v_mul_f16_e32 v121, 0x3a52, v121
	v_sub_f16_e32 v117, v118, v117
	v_mul_f16_e32 v87, 0x2b26, v122
	v_fma_f16 v118, v62, 0x3b00, -v128
	v_mul_f16_e32 v62, 0xbb00, v62
	v_sub_f16_e32 v115, v113, v115
	v_add_f16_e32 v129, v129, v113
	v_mul_f16_e32 v123, 0x3a52, v123
	v_fmamk_f16 v135, v114, 0x3574, v128
	v_fma_f16 v87, v116, 0x39e0, -v87
	v_fma_f16 v113, v116, 0xb9e0, -v121
	v_mul_f16_e32 v116, 0x2b26, v119
	v_fmac_f16_e32 v62, 0xb574, v114
	v_fma_f16 v114, v63, 0x3b00, -v130
	v_mul_f16_e32 v63, 0xbb00, v63
	v_fmamk_f16 v134, v115, 0x3574, v130
	v_fma_f16 v116, v117, 0x39e0, -v116
	v_fma_f16 v117, v117, 0xb9e0, -v123
	v_add_f16_e32 v113, v113, v125
	v_fmac_f16_e32 v63, 0xb574, v115
	v_fmac_f16_e32 v62, 0x370e, v127
	v_add_f16_e32 v115, v116, v124
	v_add_f16_e32 v116, v117, v124
	v_fmamk_f16 v133, v119, 0x2b26, v123
	v_fmac_f16_e32 v63, 0x370e, v129
	v_add_f16_e32 v87, v87, v125
	v_fmac_f16_e32 v118, 0x370e, v127
	v_fmac_f16_e32 v114, 0x370e, v129
	v_sub_f16_e32 v119, v116, v62
	v_add_f16_e32 v117, v63, v113
	v_sub_f16_e32 v63, v113, v63
	v_add_f16_e32 v62, v62, v116
	v_add_f16_e32 v120, v118, v115
	v_lshrrev_b32_e32 v113, 16, v229
	v_pack_b32_f16 v117, v117, v119
	v_sub_f16_e32 v119, v87, v114
	v_add_f16_e32 v87, v114, v87
	v_sub_f16_e32 v114, v115, v118
	v_pack_b32_f16 v62, v63, v62
	v_mul_f16_sdwa v115, v229, v50 dst_sel:DWORD dst_unused:UNUSED_PAD src0_sel:DWORD src1_sel:WORD_1
	v_pack_b32_f16 v119, v119, v120
	v_lshrrev_b32_e32 v116, 16, v231
	v_pack_b32_f16 v87, v87, v114
	v_mul_f16_sdwa v114, v113, v50 dst_sel:DWORD dst_unused:UNUSED_PAD src0_sel:DWORD src1_sel:WORD_1
	v_fmac_f16_e32 v115, v113, v50
	v_mul_f16_sdwa v113, v72, v214 dst_sel:DWORD dst_unused:UNUSED_PAD src0_sel:DWORD src1_sel:WORD_1
	v_mul_f16_sdwa v118, v231, v213 dst_sel:DWORD dst_unused:UNUSED_PAD src0_sel:DWORD src1_sel:WORD_1
	ds_write2_b32 v223, v87, v62 offset0:201 offset1:250
	v_lshrrev_b32_e32 v62, 16, v227
	v_mul_f16_sdwa v87, v227, v48 dst_sel:DWORD dst_unused:UNUSED_PAD src0_sel:DWORD src1_sel:WORD_1
	ds_write2_b32 v223, v117, v119 offset0:103 offset1:152
	v_mul_f16_sdwa v117, v116, v213 dst_sel:DWORD dst_unused:UNUSED_PAD src0_sel:DWORD src1_sel:WORD_1
	v_fmac_f16_e32 v118, v116, v213
	v_mul_f16_sdwa v63, v62, v48 dst_sel:DWORD dst_unused:UNUSED_PAD src0_sel:DWORD src1_sel:WORD_1
	v_fmac_f16_e32 v87, v62, v48
	v_lshrrev_b32_e32 v62, 16, v72
	v_mul_f16_sdwa v116, v76, v49 dst_sel:DWORD dst_unused:UNUSED_PAD src0_sel:DWORD src1_sel:WORD_1
	v_fma_f16 v117, v231, v213, -v117
	v_fma_f16 v63, v227, v48, -v63
	v_mul_f16_sdwa v119, v74, v51 dst_sel:DWORD dst_unused:UNUSED_PAD src0_sel:DWORD src1_sel:WORD_1
	v_fmac_f16_e32 v113, v62, v214
	v_mul_f16_sdwa v62, v62, v214 dst_sel:DWORD dst_unused:UNUSED_PAD src0_sel:DWORD src1_sel:WORD_1
	v_fmamk_f16 v131, v122, 0x2b26, v121
	v_fma_f16 v114, v229, v50, -v114
	v_add_f16_e32 v133, v133, v124
	v_fmac_f16_e32 v134, 0x370e, v129
	v_fma_f16 v62, v72, v214, -v62
	v_add_f16_e32 v131, v131, v125
	v_fmac_f16_e32 v135, 0x370e, v127
	v_add_f16_e32 v72, v63, v62
	v_sub_f16_e32 v62, v63, v62
	v_add_f16_e32 v63, v87, v113
	v_sub_f16_e32 v87, v87, v113
	v_lshrrev_b32_e32 v113, 16, v76
	v_add_f16_e32 v136, v134, v131
	v_sub_f16_e32 v137, v133, v135
	v_fmac_f16_e32 v116, v113, v49
	v_mul_f16_sdwa v113, v113, v49 dst_sel:DWORD dst_unused:UNUSED_PAD src0_sel:DWORD src1_sel:WORD_1
	v_pack_b32_f16 v136, v136, v137
	v_fma_f16 v76, v76, v49, -v113
	ds_write2_b32 v223, v126, v136 offset0:5 offset1:54
	v_add_f16_e32 v113, v76, v117
	v_sub_f16_e32 v76, v76, v117
	v_add_f16_e32 v117, v116, v118
	v_sub_f16_e32 v116, v116, v118
	v_lshrrev_b32_e32 v118, 16, v74
	v_add_f16_e32 v120, v113, v72
	v_fmac_f16_e32 v119, v118, v51
	v_mul_f16_sdwa v118, v118, v51 dst_sel:DWORD dst_unused:UNUSED_PAD src0_sel:DWORD src1_sel:WORD_1
	v_fma_f16 v74, v74, v51, -v118
	v_add_f16_e32 v118, v114, v74
	v_sub_f16_e32 v74, v74, v114
	v_add_f16_e32 v114, v115, v119
	v_sub_f16_e32 v115, v119, v115
	v_add_f16_e32 v119, v117, v63
	v_add_f16_e32 v120, v118, v120
	v_add_f16_e32 v123, v74, v76
	v_sub_f16_e32 v124, v74, v76
	v_sub_f16_e32 v74, v62, v74
	v_add_f16_e32 v119, v114, v119
	v_sub_f16_e32 v126, v115, v116
	v_add_f16_e32 v123, v123, v62
	v_mul_f16_e32 v124, 0xb846, v124
	v_sub_f16_e32 v62, v76, v62
	v_add_f16_sdwa v121, v119, v70 dst_sel:DWORD dst_unused:UNUSED_PAD src0_sel:DWORD src1_sel:WORD_1
	v_add_f16_e32 v70, v120, v70
	v_add_f16_e32 v125, v115, v116
	v_mul_f16_e32 v126, 0xb846, v126
	v_sub_f16_e32 v76, v116, v87
	v_lshlrev_b32_e32 v122, 16, v121
	v_fmac_f16_e32 v121, 0xbcab, v119
	v_sub_f16_e32 v119, v72, v118
	v_sub_f16_e32 v118, v118, v113
	;; [unrolled: 1-line block ×3, first 2 shown]
	v_or_b32_sdwa v122, v122, v70 dst_sel:DWORD dst_unused:UNUSED_PAD src0_sel:DWORD src1_sel:WORD_0
	v_fmac_f16_e32 v70, 0xbcab, v120
	v_sub_f16_e32 v120, v63, v114
	v_sub_f16_e32 v114, v114, v117
	v_fma_f16 v113, v62, 0x3b00, -v124
	v_mul_f16_e32 v62, 0xbb00, v62
	v_sub_f16_e32 v115, v87, v115
	v_mul_f16_e32 v119, 0x3a52, v119
	v_add_f16_e32 v125, v125, v87
	v_mul_f16_e32 v120, 0x3a52, v120
	v_fmamk_f16 v130, v74, 0x3574, v124
	v_sub_f16_e32 v63, v117, v63
	v_mul_f16_e32 v80, 0x2b26, v118
	v_mul_f16_e32 v87, 0x2b26, v114
	v_fmac_f16_e32 v62, 0xb574, v74
	v_fma_f16 v74, v76, 0x3b00, -v126
	v_mul_f16_e32 v76, 0xbb00, v76
	v_fmamk_f16 v127, v118, 0x2b26, v119
	v_fma_f16 v80, v72, 0x39e0, -v80
	v_fma_f16 v72, v72, 0xb9e0, -v119
	;; [unrolled: 1-line block ×4, first 2 shown]
	v_fmac_f16_e32 v76, 0xb574, v115
	v_add_f16_e32 v127, v127, v70
	v_fmamk_f16 v128, v114, 0x2b26, v120
	v_fmamk_f16 v129, v115, 0x3574, v126
	v_add_f16_e32 v80, v80, v70
	v_add_f16_e32 v70, v72, v70
	;; [unrolled: 1-line block ×3, first 2 shown]
	v_fmac_f16_e32 v62, 0x370e, v123
	v_fmac_f16_e32 v76, 0x370e, v125
	v_add_f16_e32 v128, v128, v121
	v_fmac_f16_e32 v129, 0x370e, v125
	v_fmac_f16_e32 v130, 0x370e, v123
	v_add_f16_e32 v72, v87, v121
	;; [unrolled: 3-line block ×3, first 2 shown]
	v_sub_f16_e32 v114, v63, v62
	v_add_f16_e32 v136, v129, v127
	v_sub_f16_e32 v137, v128, v130
	v_add_f16_e32 v115, v113, v72
	v_sub_f16_e32 v72, v72, v113
	v_pack_b32_f16 v87, v87, v114
	v_sub_f16_e32 v114, v80, v74
	v_add_f16_e32 v74, v74, v80
	v_sub_f16_e32 v70, v70, v76
	v_add_f16_e32 v62, v62, v63
	v_pack_b32_f16 v136, v136, v137
	v_pack_b32_f16 v114, v114, v115
	;; [unrolled: 1-line block ×3, first 2 shown]
	v_lshrrev_b32_e32 v72, 16, v75
	v_pack_b32_f16 v62, v70, v62
	ds_write2_b32 v203, v122, v136 offset0:92 offset1:141
	ds_write2_b32 v203, v87, v114 offset0:190 offset1:239
	buffer_store_dword v8, off, s[20:23], 0 offset:224 ; 4-byte Folded Spill
	buffer_store_dword v3, off, s[20:23], 0 offset:208 ; 4-byte Folded Spill
	v_mul_f16_sdwa v74, v72, v92 dst_sel:DWORD dst_unused:UNUSED_PAD src0_sel:DWORD src1_sel:WORD_1
	ds_write2_b32 v8, v63, v62 offset0:32 offset1:81
	v_lshrrev_b32_e32 v62, 16, v77
	v_mul_f16_sdwa v70, v77, v90 dst_sel:DWORD dst_unused:UNUSED_PAD src0_sel:DWORD src1_sel:WORD_1
	v_lshrrev_b32_e32 v76, 16, v73
	v_fma_f16 v74, v75, v92, -v74
	v_mul_f16_sdwa v75, v75, v92 dst_sel:DWORD dst_unused:UNUSED_PAD src0_sel:DWORD src1_sel:WORD_1
	v_mul_f16_sdwa v63, v62, v90 dst_sel:DWORD dst_unused:UNUSED_PAD src0_sel:DWORD src1_sel:WORD_1
	v_fmac_f16_e32 v70, v62, v90
	v_lshrrev_b32_e32 v62, 16, v68
	v_mul_f16_sdwa v80, v66, v91 dst_sel:DWORD dst_unused:UNUSED_PAD src0_sel:DWORD src1_sel:WORD_1
	v_fmac_f16_e32 v75, v72, v92
	v_fma_f16 v63, v77, v90, -v63
	v_mul_f16_sdwa v77, v76, v162 dst_sel:DWORD dst_unused:UNUSED_PAD src0_sel:DWORD src1_sel:WORD_1
	v_mul_f16_sdwa v72, v68, v89 dst_sel:DWORD dst_unused:UNUSED_PAD src0_sel:DWORD src1_sel:WORD_1
	v_lshlrev_b32_sdwa v8, v79, v86 dst_sel:DWORD dst_unused:UNUSED_PAD src0_sel:DWORD src1_sel:WORD_0
	v_fma_f16 v77, v73, v162, -v77
	v_mul_f16_sdwa v73, v73, v162 dst_sel:DWORD dst_unused:UNUSED_PAD src0_sel:DWORD src1_sel:WORD_1
	v_fmac_f16_e32 v72, v62, v89
	v_mul_f16_sdwa v62, v62, v89 dst_sel:DWORD dst_unused:UNUSED_PAD src0_sel:DWORD src1_sel:WORD_1
	v_add_nc_u32_e32 v9, 0x1800, v8
	v_fmac_f16_e32 v73, v76, v162
	v_fma_f16 v62, v68, v89, -v62
	buffer_store_dword v9, off, s[20:23], 0 offset:192 ; 4-byte Folded Spill
	v_add_f16_e32 v76, v72, v73
	v_sub_f16_e32 v72, v72, v73
	v_add_f16_e32 v68, v62, v77
	v_sub_f16_e32 v62, v62, v77
	v_lshrrev_b32_e32 v73, 16, v64
	v_mul_f16_sdwa v77, v64, v161 dst_sel:DWORD dst_unused:UNUSED_PAD src0_sel:DWORD src1_sel:WORD_1
	v_fmac_f16_e32 v77, v73, v161
	v_mul_f16_sdwa v73, v73, v161 dst_sel:DWORD dst_unused:UNUSED_PAD src0_sel:DWORD src1_sel:WORD_1
	v_fma_f16 v64, v64, v161, -v73
	v_add_f16_e32 v73, v63, v64
	v_sub_f16_e32 v63, v63, v64
	v_add_f16_e32 v64, v70, v77
	v_sub_f16_e32 v70, v70, v77
	v_lshrrev_b32_e32 v77, 16, v66
	v_add_f16_e32 v87, v73, v68
	v_fmac_f16_e32 v80, v77, v91
	v_mul_f16_sdwa v77, v77, v91 dst_sel:DWORD dst_unused:UNUSED_PAD src0_sel:DWORD src1_sel:WORD_1
	v_fma_f16 v66, v66, v91, -v77
	v_add_f16_e32 v77, v66, v74
	v_sub_f16_e32 v66, v74, v66
	v_add_f16_e32 v74, v80, v75
	v_sub_f16_e32 v75, v75, v80
	v_add_f16_e32 v80, v64, v76
	v_add_f16_e32 v87, v77, v87
	;; [unrolled: 1-line block ×3, first 2 shown]
	v_sub_f16_e32 v116, v66, v63
	v_sub_f16_e32 v66, v62, v66
	v_add_f16_e32 v80, v74, v80
	v_sub_f16_e32 v118, v75, v70
	v_add_f16_e32 v115, v115, v62
	v_mul_f16_e32 v116, 0xb846, v116
	v_sub_f16_e32 v62, v63, v62
	v_add_f16_sdwa v113, v80, v71 dst_sel:DWORD dst_unused:UNUSED_PAD src0_sel:DWORD src1_sel:WORD_1
	v_add_f16_e32 v71, v87, v71
	v_add_f16_e32 v117, v75, v70
	v_mul_f16_e32 v118, 0xb846, v118
	v_sub_f16_e32 v63, v70, v72
	v_lshlrev_b32_e32 v114, 16, v113
	v_fmac_f16_e32 v113, 0xbcab, v80
	v_sub_f16_e32 v80, v68, v77
	v_sub_f16_e32 v77, v77, v73
	;; [unrolled: 1-line block ×3, first 2 shown]
	v_or_b32_sdwa v114, v114, v71 dst_sel:DWORD dst_unused:UNUSED_PAD src0_sel:DWORD src1_sel:WORD_0
	v_fmac_f16_e32 v71, 0xbcab, v87
	v_sub_f16_e32 v87, v76, v74
	v_sub_f16_e32 v74, v74, v64
	v_fma_f16 v73, v62, 0x3b00, -v116
	v_mul_f16_e32 v62, 0xbb00, v62
	v_sub_f16_e32 v75, v72, v75
	v_mul_f16_e32 v80, 0x3a52, v80
	v_add_f16_e32 v117, v117, v72
	v_mul_f16_e32 v87, 0x3a52, v87
	v_fmamk_f16 v122, v66, 0x3574, v116
	v_sub_f16_e32 v64, v64, v76
	v_mul_f16_e32 v70, 0x2b26, v77
	v_mul_f16_e32 v72, 0x2b26, v74
	v_fmac_f16_e32 v62, 0xb574, v66
	v_fma_f16 v66, v63, 0x3b00, -v118
	v_mul_f16_e32 v63, 0xbb00, v63
	v_fmamk_f16 v119, v77, 0x2b26, v80
	v_fmamk_f16 v120, v74, 0x2b26, v87
	;; [unrolled: 1-line block ×3, first 2 shown]
	v_fma_f16 v70, v68, 0x39e0, -v70
	v_fma_f16 v68, v68, 0xb9e0, -v80
	;; [unrolled: 1-line block ×4, first 2 shown]
	v_fmac_f16_e32 v63, 0xb574, v75
	v_add_f16_e32 v119, v119, v71
	v_add_f16_e32 v120, v120, v113
	v_fmac_f16_e32 v121, 0x370e, v117
	v_fmac_f16_e32 v122, 0x370e, v115
	v_add_f16_e32 v68, v68, v71
	v_add_f16_e32 v64, v64, v113
	v_fmac_f16_e32 v62, 0x370e, v115
	v_fmac_f16_e32 v63, 0x370e, v117
	v_add_f16_e32 v123, v121, v119
	v_sub_f16_e32 v124, v120, v122
	v_add_f16_e32 v70, v70, v71
	v_add_f16_e32 v71, v72, v113
	v_fmac_f16_e32 v73, 0x370e, v115
	v_fmac_f16_e32 v66, 0x370e, v117
	v_add_f16_e32 v72, v63, v68
	v_sub_f16_e32 v74, v64, v62
	v_pack_b32_f16 v123, v123, v124
	v_sub_f16_e32 v63, v68, v63
	v_add_f16_e32 v62, v62, v64
	v_add_f16_e32 v75, v73, v71
	v_pack_b32_f16 v72, v72, v74
	v_sub_f16_e32 v74, v70, v66
	v_add_f16_e32 v66, v66, v70
	v_sub_f16_e32 v70, v71, v73
	ds_write2_b32 v9, v114, v123 offset0:179 offset1:228
	v_add_nc_u32_e32 v9, 0x1c00, v8
	v_pack_b32_f16 v62, v63, v62
	buffer_store_dword v9, off, s[20:23], 0 offset:196 ; 4-byte Folded Spill
	buffer_store_dword v8, off, s[20:23], 0 offset:204 ; 4-byte Folded Spill
	v_pack_b32_f16 v64, v66, v70
	v_pack_b32_f16 v74, v74, v75
	v_lshrrev_b32_e32 v66, 16, v13
	ds_write2_b32 v9, v64, v62 offset0:119 offset1:168
	v_lshrrev_b32_e32 v62, 16, v69
	v_mul_f16_sdwa v64, v69, v103 dst_sel:DWORD dst_unused:UNUSED_PAD src0_sel:DWORD src1_sel:WORD_1
	ds_write2_b32 v9, v72, v74 offset0:21 offset1:70
	v_mul_f16_sdwa v68, v66, v104 dst_sel:DWORD dst_unused:UNUSED_PAD src0_sel:DWORD src1_sel:WORD_1
	v_lshrrev_b32_e32 v72, 16, v14
	v_mul_f16_sdwa v63, v62, v103 dst_sel:DWORD dst_unused:UNUSED_PAD src0_sel:DWORD src1_sel:WORD_1
	v_fmac_f16_e32 v64, v62, v103
	v_lshrrev_b32_e32 v62, 16, v12
	v_fma_f16 v68, v13, v104, -v68
	v_mul_f16_sdwa v13, v13, v104 dst_sel:DWORD dst_unused:UNUSED_PAD src0_sel:DWORD src1_sel:WORD_1
	v_fma_f16 v63, v69, v103, -v63
	v_lshrrev_b32_e32 v69, 16, v67
	v_mul_f16_sdwa v73, v72, v164 dst_sel:DWORD dst_unused:UNUSED_PAD src0_sel:DWORD src1_sel:WORD_1
	v_lshlrev_b32_sdwa v9, v79, v85 dst_sel:DWORD dst_unused:UNUSED_PAD src0_sel:DWORD src1_sel:WORD_0
	v_fmac_f16_e32 v13, v66, v104
	v_mul_f16_sdwa v66, v62, v106 dst_sel:DWORD dst_unused:UNUSED_PAD src0_sel:DWORD src1_sel:WORD_1
	v_mul_f16_sdwa v70, v69, v105 dst_sel:DWORD dst_unused:UNUSED_PAD src0_sel:DWORD src1_sel:WORD_1
	v_fma_f16 v73, v14, v164, -v73
	v_mul_f16_sdwa v14, v14, v164 dst_sel:DWORD dst_unused:UNUSED_PAD src0_sel:DWORD src1_sel:WORD_1
	v_add_nc_u32_e32 v219, 0x2000, v9
	v_fma_f16 v66, v12, v106, -v66
	v_fma_f16 v70, v67, v105, -v70
	v_mul_f16_sdwa v67, v67, v105 dst_sel:DWORD dst_unused:UNUSED_PAD src0_sel:DWORD src1_sel:WORD_1
	v_mul_f16_sdwa v12, v12, v106 dst_sel:DWORD dst_unused:UNUSED_PAD src0_sel:DWORD src1_sel:WORD_1
	v_fmac_f16_e32 v14, v72, v164
	buffer_store_dword v9, off, s[20:23], 0 offset:200 ; 4-byte Folded Spill
	v_fmac_f16_e32 v67, v69, v105
	v_lshrrev_b32_e32 v69, 16, v65
	v_fmac_f16_e32 v12, v62, v106
	v_add_f16_e32 v62, v63, v73
	v_sub_f16_e32 v63, v63, v73
	v_mul_f16_sdwa v71, v69, v163 dst_sel:DWORD dst_unused:UNUSED_PAD src0_sel:DWORD src1_sel:WORD_1
	v_fma_f16 v71, v65, v163, -v71
	v_mul_f16_sdwa v65, v65, v163 dst_sel:DWORD dst_unused:UNUSED_PAD src0_sel:DWORD src1_sel:WORD_1
	v_fmac_f16_e32 v65, v69, v163
	v_add_f16_e32 v69, v64, v14
	v_sub_f16_e32 v14, v64, v14
	v_add_f16_e32 v64, v68, v71
	v_sub_f16_e32 v68, v68, v71
	;; [unrolled: 2-line block ×5, first 2 shown]
	v_add_f16_e32 v67, v71, v69
	v_add_f16_e32 v72, v64, v62
	;; [unrolled: 1-line block ×3, first 2 shown]
	v_sub_f16_e32 v76, v66, v68
	v_add_f16_e32 v77, v12, v13
	v_add_f16_e32 v67, v70, v67
	;; [unrolled: 1-line block ×3, first 2 shown]
	v_sub_f16_e32 v66, v63, v66
	v_sub_f16_e32 v79, v12, v13
	;; [unrolled: 1-line block ×3, first 2 shown]
	v_add_f16_sdwa v73, v67, v6 dst_sel:DWORD dst_unused:UNUSED_PAD src0_sel:DWORD src1_sel:WORD_1
	v_add_f16_e32 v6, v72, v6
	v_add_f16_e32 v75, v75, v63
	;; [unrolled: 1-line block ×3, first 2 shown]
	v_mul_f16_e32 v76, 0xb846, v76
	v_lshlrev_b32_e32 v74, 16, v73
	v_fmac_f16_e32 v73, 0xbcab, v67
	v_sub_f16_e32 v67, v62, v65
	v_sub_f16_e32 v65, v65, v64
	;; [unrolled: 1-line block ×5, first 2 shown]
	v_mul_f16_e32 v67, 0x3a52, v67
	v_mul_f16_e32 v14, 0x2b26, v65
	v_or_b32_sdwa v74, v74, v6 dst_sel:DWORD dst_unused:UNUSED_PAD src0_sel:DWORD src1_sel:WORD_0
	v_fmac_f16_e32 v6, 0xbcab, v72
	v_sub_f16_e32 v72, v69, v70
	v_sub_f16_e32 v70, v70, v71
	v_mul_f16_e32 v79, 0xb846, v79
	v_fmamk_f16 v80, v65, 0x2b26, v67
	v_fma_f16 v14, v62, 0x39e0, -v14
	v_fma_f16 v62, v62, 0xb9e0, -v67
	;; [unrolled: 1-line block ×3, first 2 shown]
	v_mul_f16_e32 v63, 0xbb00, v63
	v_mul_f16_e32 v72, 0x3a52, v72
	v_fmamk_f16 v87, v66, 0x3574, v76
	v_sub_f16_e32 v64, v71, v69
	v_mul_f16_e32 v65, 0x2b26, v70
	v_fmac_f16_e32 v63, 0xb574, v66
	v_fma_f16 v66, v13, 0x3b00, -v79
	v_mul_f16_e32 v13, 0xbb00, v13
	v_add_f16_e32 v80, v80, v6
	v_fma_f16 v65, v64, 0x39e0, -v65
	v_fma_f16 v64, v64, 0xb9e0, -v72
	v_fmamk_f16 v86, v12, 0x3574, v79
	v_fmac_f16_e32 v13, 0xb574, v12
	v_add_f16_e32 v12, v14, v6
	v_add_f16_e32 v6, v62, v6
	;; [unrolled: 1-line block ×3, first 2 shown]
	v_fmac_f16_e32 v63, 0x370e, v75
	v_fmac_f16_e32 v13, 0x370e, v77
	v_add_f16_e32 v14, v65, v73
	v_fmac_f16_e32 v67, 0x370e, v75
	v_fmac_f16_e32 v66, 0x370e, v77
	v_sub_f16_e32 v65, v62, v63
	v_add_f16_e32 v64, v13, v6
	v_fmamk_f16 v85, v70, 0x2b26, v72
	v_add_f16_e32 v68, v67, v14
	v_sub_f16_e32 v14, v14, v67
	v_sub_f16_e32 v6, v6, v13
	v_pack_b32_f16 v64, v64, v65
	v_sub_f16_e32 v65, v12, v66
	v_add_f16_e32 v12, v66, v12
	v_add_f16_e32 v13, v63, v62
	;; [unrolled: 1-line block ×3, first 2 shown]
	v_fmac_f16_e32 v86, 0x370e, v77
	v_fmac_f16_e32 v87, 0x370e, v75
	v_pack_b32_f16 v12, v12, v14
	v_pack_b32_f16 v6, v6, v13
	v_add_f16_e32 v13, v135, v133
	v_add_f16_e32 v113, v86, v80
	v_sub_f16_e32 v114, v85, v87
	v_sub_f16_e32 v14, v127, v129
	ds_write2_b32 v219, v12, v6 offset0:206 offset1:255
	v_sub_f16_e32 v6, v7, v60
	v_add_f16_e32 v7, v61, v15
	v_sub_f16_e32 v12, v131, v134
	v_add_f16_e32 v15, v130, v128
	;; [unrolled: 2-line block ×4, first 2 shown]
	v_pack_b32_f16 v113, v113, v114
	v_pack_b32_f16 v65, v65, v68
	;; [unrolled: 1-line block ×7, first 2 shown]
	ds_write2_b32 v219, v74, v113 offset0:10 offset1:59
	ds_write2_b32 v219, v64, v65 offset0:108 offset1:157
	ds_write_b32 v1, v6 offset:3920
	ds_write_b32 v2, v7 offset:5292
	;; [unrolled: 1-line block ×5, first 2 shown]
	s_waitcnt lgkmcnt(0)
	s_waitcnt_vscnt null, 0x0
	s_barrier
	buffer_gl0_inv
	ds_read2_b32 v[61:62], v187 offset0:174 offset1:223
	s_clause 0x1
	global_load_dwordx2 v[137:138], v[4:5], off offset:1360
	global_load_dwordx4 v[107:110], v[4:5], off offset:1344
	s_waitcnt lgkmcnt(0)
	v_lshrrev_b32_e32 v6, 16, v61
	s_waitcnt vmcnt(0)
	v_mul_f16_sdwa v7, v61, v108 dst_sel:DWORD dst_unused:UNUSED_PAD src0_sel:DWORD src1_sel:WORD_1
	v_mul_f16_sdwa v4, v6, v108 dst_sel:DWORD dst_unused:UNUSED_PAD src0_sel:DWORD src1_sel:WORD_1
	v_fmac_f16_e32 v7, v6, v108
	v_fma_f16 v6, v61, v108, -v4
	v_mad_u64_u32 v[4:5], null, v78, 24, s[2:3]
	s_clause 0x1
	global_load_dwordx2 v[195:196], v[4:5], off offset:1360
	global_load_dwordx4 v[252:255], v[4:5], off offset:1344
	v_add_co_u32 v60, vcc_lo, 0x498, v4
	v_add_co_ci_u32_e32 v61, vcc_lo, 0, v5, vcc_lo
	v_add_co_u32 v64, vcc_lo, 0x930, v4
	v_add_co_ci_u32_e32 v65, vcc_lo, 0, v5, vcc_lo
	v_add_co_u32 v68, vcc_lo, 0xdc8, v4
	v_lshrrev_b32_e32 v78, 16, v62
	v_add_co_ci_u32_e32 v69, vcc_lo, 0, v5, vcc_lo
	v_add_co_u32 v72, vcc_lo, 0x1260, v4
	v_add_co_ci_u32_e32 v73, vcc_lo, 0, v5, vcc_lo
	v_add_co_u32 v76, vcc_lo, 0x16f8, v4
	v_add_co_ci_u32_e32 v77, vcc_lo, 0, v5, vcc_lo
	ds_read2_b32 v[123:124], v193 offset0:38 offset1:87
	ds_read2_b32 v[133:134], v233 offset0:100 offset1:149
	;; [unrolled: 1-line block ×3, first 2 shown]
	s_waitcnt lgkmcnt(1)
	v_lshrrev_b32_e32 v246, 16, v134
	s_waitcnt lgkmcnt(0)
	v_lshrrev_b32_e32 v244, 16, v136
	s_waitcnt vmcnt(0)
	v_mul_f16_sdwa v4, v78, v253 dst_sel:DWORD dst_unused:UNUSED_PAD src0_sel:DWORD src1_sel:WORD_1
	v_mul_f16_sdwa v67, v62, v253 dst_sel:DWORD dst_unused:UNUSED_PAD src0_sel:DWORD src1_sel:WORD_1
	v_fma_f16 v66, v62, v253, -v4
	ds_read2_b32 v[62:63], v184 offset0:92 offset1:141
	v_fmac_f16_e32 v67, v78, v253
	s_waitcnt lgkmcnt(0)
	v_lshrrev_b32_e32 v4, 16, v62
	v_lshrrev_b32_e32 v79, 16, v63
	v_mul_f16_sdwa v80, v62, v110 dst_sel:DWORD dst_unused:UNUSED_PAD src0_sel:DWORD src1_sel:WORD_1
	v_mul_f16_sdwa v71, v63, v255 dst_sel:DWORD dst_unused:UNUSED_PAD src0_sel:DWORD src1_sel:WORD_1
	;; [unrolled: 1-line block ×4, first 2 shown]
	v_fmac_f16_e32 v80, v4, v110
	v_lshrrev_b32_e32 v4, 16, v124
	v_fmac_f16_e32 v71, v79, v255
	v_fma_f16 v5, v62, v110, -v5
	v_fma_f16 v70, v63, v255, -v70
	ds_read2_b32 v[62:63], v182 offset0:10 offset1:59
	s_waitcnt lgkmcnt(0)
	v_lshrrev_b32_e32 v85, 16, v62
	v_lshrrev_b32_e32 v87, 16, v63
	v_mul_f16_sdwa v75, v63, v196 dst_sel:DWORD dst_unused:UNUSED_PAD src0_sel:DWORD src1_sel:WORD_1
	v_mul_f16_sdwa v74, v85, v138 dst_sel:DWORD dst_unused:UNUSED_PAD src0_sel:DWORD src1_sel:WORD_1
	v_fmac_f16_e32 v75, v87, v196
	v_fma_f16 v86, v62, v138, -v74
	v_mul_f16_sdwa v74, v87, v196 dst_sel:DWORD dst_unused:UNUSED_PAD src0_sel:DWORD src1_sel:WORD_1
	v_mul_f16_sdwa v62, v62, v138 dst_sel:DWORD dst_unused:UNUSED_PAD src0_sel:DWORD src1_sel:WORD_1
	v_fma_f16 v74, v63, v196, -v74
	v_mul_f16_sdwa v63, v124, v107 dst_sel:DWORD dst_unused:UNUSED_PAD src0_sel:DWORD src1_sel:WORD_1
	v_fmac_f16_e32 v62, v85, v138
	v_fmac_f16_e32 v63, v4, v107
	v_mul_f16_sdwa v4, v4, v107 dst_sel:DWORD dst_unused:UNUSED_PAD src0_sel:DWORD src1_sel:WORD_1
	v_add_f16_e32 v79, v63, v62
	v_fma_f16 v4, v124, v107, -v4
	ds_read2_b32 v[124:125], v192 offset0:130 offset1:179
	v_sub_f16_e32 v62, v63, v62
	v_add_f16_e32 v78, v4, v86
	v_sub_f16_e32 v4, v4, v86
	s_waitcnt lgkmcnt(0)
	v_lshrrev_b32_e32 v63, 16, v125
	v_mul_f16_sdwa v85, v125, v137 dst_sel:DWORD dst_unused:UNUSED_PAD src0_sel:DWORD src1_sel:WORD_1
	v_fmac_f16_e32 v85, v63, v137
	v_mul_f16_sdwa v63, v63, v137 dst_sel:DWORD dst_unused:UNUSED_PAD src0_sel:DWORD src1_sel:WORD_1
	v_fma_f16 v63, v125, v137, -v63
	ds_read2_b32 v[125:126], v23 offset0:84 offset1:133
	v_add_f16_e32 v86, v6, v63
	v_sub_f16_e32 v6, v6, v63
	v_add_f16_e32 v63, v7, v85
	v_sub_f16_e32 v7, v7, v85
	v_sub_f16_e32 v114, v86, v78
	;; [unrolled: 1-line block ×3, first 2 shown]
	s_waitcnt lgkmcnt(0)
	v_lshrrev_b32_e32 v85, 16, v126
	v_mul_f16_sdwa v87, v126, v109 dst_sel:DWORD dst_unused:UNUSED_PAD src0_sel:DWORD src1_sel:WORD_1
	v_fmac_f16_e32 v87, v85, v109
	v_mul_f16_sdwa v85, v85, v109 dst_sel:DWORD dst_unused:UNUSED_PAD src0_sel:DWORD src1_sel:WORD_1
	v_fma_f16 v85, v126, v109, -v85
	v_add_f16_e32 v113, v85, v5
	v_sub_f16_e32 v5, v5, v85
	v_add_f16_e32 v85, v87, v80
	v_sub_f16_e32 v80, v80, v87
	;; [unrolled: 2-line block ×3, first 2 shown]
	v_sub_f16_e32 v86, v113, v86
	v_sub_f16_e32 v116, v85, v63
	;; [unrolled: 1-line block ×3, first 2 shown]
	v_add_f16_e32 v87, v113, v87
	v_add_f16_e32 v113, v63, v79
	;; [unrolled: 1-line block ×3, first 2 shown]
	v_sub_f16_e32 v79, v79, v85
	v_mul_f16_e32 v78, 0x3a52, v78
	v_add_f16_e32 v85, v85, v113
	v_sub_f16_e32 v113, v5, v6
	v_sub_f16_e32 v5, v4, v5
	v_sub_f16_e32 v6, v6, v4
	v_add_f16_e32 v4, v63, v4
	v_add_f16_e32 v63, v80, v7
	v_sub_f16_e32 v80, v62, v80
	v_sub_f16_e32 v7, v7, v62
	v_mul_f16_e32 v79, 0x3a52, v79
	v_mul_f16_e32 v113, 0xb846, v113
	v_add_f16_e32 v118, v63, v62
	ds_read2_b32 v[62:63], v132 offset1:49
	v_fmamk_f16 v122, v5, 0x3574, v113
	v_fmac_f16_e32 v122, 0x370e, v4
	s_waitcnt lgkmcnt(0)
	v_add_f16_sdwa v119, v85, v62 dst_sel:DWORD dst_unused:UNUSED_PAD src0_sel:DWORD src1_sel:WORD_1
	v_add_f16_e32 v120, v87, v62
	v_lshlrev_b32_e32 v62, 16, v119
	v_fmac_f16_e32 v119, 0xbcab, v85
	v_mul_f16_e32 v85, 0x2b26, v86
	v_fmamk_f16 v86, v86, 0x2b26, v78
	v_fma_f16 v78, v114, 0xb9e0, -v78
	v_or_b32_sdwa v62, v62, v120 dst_sel:DWORD dst_unused:UNUSED_PAD src0_sel:DWORD src1_sel:WORD_0
	v_fmac_f16_e32 v120, 0xbcab, v87
	v_mul_f16_e32 v87, 0x2b26, v116
	v_fma_f16 v85, v114, 0x39e0, -v85
	v_fmamk_f16 v114, v116, 0x2b26, v79
	v_fma_f16 v79, v115, 0xb9e0, -v79
	v_add_f16_e32 v86, v86, v120
	v_fma_f16 v87, v115, 0x39e0, -v87
	v_mul_f16_e32 v115, 0xbb00, v6
	v_fma_f16 v6, v6, 0x3b00, -v113
	v_mul_f16_e32 v113, 0xbb00, v7
	v_add_f16_e32 v116, v79, v119
	v_add_f16_e32 v87, v87, v119
	v_fmac_f16_e32 v115, 0xb574, v5
	v_mul_f16_e32 v5, 0xb846, v117
	v_add_f16_e32 v117, v114, v119
	v_fmac_f16_e32 v113, 0xb574, v80
	v_fmac_f16_e32 v6, 0x370e, v4
	;; [unrolled: 1-line block ×3, first 2 shown]
	v_fma_f16 v7, v7, 0x3b00, -v5
	v_fmamk_f16 v5, v80, 0x3574, v5
	v_add_f16_e32 v80, v85, v120
	v_add_f16_e32 v85, v78, v120
	v_sub_f16_e32 v121, v117, v122
	v_add_f16_e32 v117, v122, v117
	v_fmac_f16_e32 v5, 0x370e, v118
	v_fmac_f16_e32 v7, 0x370e, v118
	;; [unrolled: 1-line block ×3, first 2 shown]
	v_add_f16_e32 v114, v6, v87
	v_sub_f16_e32 v119, v116, v115
	v_add_f16_e32 v120, v5, v86
	v_sub_f16_e32 v78, v80, v7
	;; [unrolled: 2-line block ×3, first 2 shown]
	v_add_f16_e32 v118, v113, v85
	v_pack_b32_f16 v4, v120, v121
	ds_read2_b32 v[121:122], v193 offset0:136 offset1:185
	v_sub_f16_e32 v113, v85, v113
	v_add_f16_e32 v115, v115, v116
	v_sub_f16_e32 v116, v86, v5
	v_lshrrev_b32_e32 v7, 16, v133
	v_mul_f16_sdwa v85, v133, v195 dst_sel:DWORD dst_unused:UNUSED_PAD src0_sel:DWORD src1_sel:WORD_1
	v_lshrrev_b32_e32 v86, 16, v135
	v_mul_f16_sdwa v87, v135, v254 dst_sel:DWORD dst_unused:UNUSED_PAD src0_sel:DWORD src1_sel:WORD_1
	ds_write_b32 v132, v4 offset:1372
	v_pack_b32_f16 v4, v118, v119
	v_fmac_f16_e32 v85, v7, v195
	v_mul_f16_sdwa v7, v7, v195 dst_sel:DWORD dst_unused:UNUSED_PAD src0_sel:DWORD src1_sel:WORD_1
	v_fmac_f16_e32 v87, v86, v254
	v_mul_f16_sdwa v86, v86, v254 dst_sel:DWORD dst_unused:UNUSED_PAD src0_sel:DWORD src1_sel:WORD_1
	v_add_f16_e32 v239, v67, v85
	v_fma_f16 v7, v133, v195, -v7
	v_add_f16_e32 v240, v87, v71
	v_fma_f16 v86, v135, v254, -v86
	s_waitcnt lgkmcnt(1)
	v_lshrrev_b32_e32 v5, 16, v121
	v_mul_f16_sdwa v6, v121, v252 dst_sel:DWORD dst_unused:UNUSED_PAD src0_sel:DWORD src1_sel:WORD_1
	v_add_f16_e32 v135, v66, v7
	v_add_f16_e32 v236, v86, v70
	v_fmac_f16_e32 v6, v5, v252
	v_mul_f16_sdwa v5, v5, v252 dst_sel:DWORD dst_unused:UNUSED_PAD src0_sel:DWORD src1_sel:WORD_1
	v_add_f16_e32 v238, v6, v75
	v_fma_f16 v5, v121, v252, -v5
	v_sub_f16_e32 v8, v6, v75
	v_sub_f16_e32 v6, v66, v7
	;; [unrolled: 1-line block ×4, first 2 shown]
	v_add_f16_e32 v133, v5, v74
	v_sub_f16_e32 v67, v71, v87
	v_sub_f16_e32 v5, v5, v74
	v_add_f16_e32 v120, v135, v133
	v_add_f16_e32 v237, v236, v120
	;; [unrolled: 1-line block ×5, first 2 shown]
	v_add_f16_sdwa v243, v241, v63 dst_sel:DWORD dst_unused:UNUSED_PAD src0_sel:DWORD src1_sel:WORD_1
	v_pack_b32_f16 v63, v78, v114
	v_pack_b32_f16 v78, v79, v80
	;; [unrolled: 1-line block ×4, first 2 shown]
	ds_write_b32 v132, v4 offset:2744
	ds_write_b32 v132, v63 offset:4116
	ds_write_b32 v132, v78 offset:5488
	ds_write_b32 v132, v79 offset:6860
	ds_write_b32 v132, v80 offset:8232
	v_lshlrev_b32_e32 v4, 16, v243
	ds_read_b32 v80, v132 offset:9408
	ds_read2_b32 v[116:117], v132 offset0:98 offset1:147
	ds_read2_b32 v[118:119], v186 offset0:16 offset1:65
	;; [unrolled: 1-line block ×14, first 2 shown]
	v_fmac_f16_e32 v243, 0xbcab, v241
	v_or_b32_sdwa v4, v4, v242 dst_sel:DWORD dst_unused:UNUSED_PAD src0_sel:DWORD src1_sel:WORD_0
	v_fmac_f16_e32 v242, 0xbcab, v237
	s_waitcnt lgkmcnt(12)
	v_lshrrev_b32_e32 v85, 16, v118
	ds_write2_b32 v132, v62, v4 offset1:49
	s_clause 0x1
	global_load_dwordx2 v[113:114], v[60:61], off offset:1360
	global_load_dwordx4 v[60:63], v[60:61], off offset:1344
	v_lshrrev_b32_e32 v4, 16, v122
	s_waitcnt lgkmcnt(11)
	v_lshrrev_b32_e32 v70, 16, v224
	s_waitcnt vmcnt(1)
	v_mul_f16_sdwa v247, v246, v113 dst_sel:DWORD dst_unused:UNUSED_PAD src0_sel:DWORD src1_sel:WORD_1
	s_waitcnt vmcnt(0)
	v_mul_f16_sdwa v115, v4, v60 dst_sel:DWORD dst_unused:UNUSED_PAD src0_sel:DWORD src1_sel:WORD_1
	v_mul_f16_sdwa v71, v224, v114 dst_sel:DWORD dst_unused:UNUSED_PAD src0_sel:DWORD src1_sel:WORD_1
	;; [unrolled: 1-line block ×4, first 2 shown]
	v_fma_f16 v247, v134, v113, -v247
	v_fma_f16 v115, v122, v60, -v115
	v_mul_f16_sdwa v122, v122, v60 dst_sel:DWORD dst_unused:UNUSED_PAD src0_sel:DWORD src1_sel:WORD_1
	v_mul_f16_sdwa v134, v134, v113 dst_sel:DWORD dst_unused:UNUSED_PAD src0_sel:DWORD src1_sel:WORD_1
	v_fmac_f16_e32 v71, v70, v114
	v_mul_f16_sdwa v70, v70, v114 dst_sel:DWORD dst_unused:UNUSED_PAD src0_sel:DWORD src1_sel:WORD_1
	v_fmac_f16_e32 v86, v85, v61
	v_fmac_f16_e32 v122, v4, v60
	v_mul_f16_sdwa v85, v85, v61 dst_sel:DWORD dst_unused:UNUSED_PAD src0_sel:DWORD src1_sel:WORD_1
	v_fma_f16 v245, v136, v62, -v245
	v_mul_f16_sdwa v136, v136, v62 dst_sel:DWORD dst_unused:UNUSED_PAD src0_sel:DWORD src1_sel:WORD_1
	v_fmac_f16_e32 v134, v246, v113
	v_fma_f16 v70, v224, v114, -v70
	v_add_f16_e32 v75, v122, v71
	v_sub_f16_e32 v71, v122, v71
	v_fma_f16 v85, v118, v61, -v85
	v_lshrrev_b32_e32 v118, 16, v220
	v_mul_f16_sdwa v122, v220, v63 dst_sel:DWORD dst_unused:UNUSED_PAD src0_sel:DWORD src1_sel:WORD_1
	v_fmac_f16_e32 v136, v244, v62
	v_add_f16_e32 v74, v115, v70
	v_sub_f16_e32 v70, v115, v70
	v_add_f16_e32 v115, v86, v134
	v_fmac_f16_e32 v122, v118, v63
	v_mul_f16_sdwa v118, v118, v63 dst_sel:DWORD dst_unused:UNUSED_PAD src0_sel:DWORD src1_sel:WORD_1
	v_add_f16_e32 v87, v85, v247
	v_sub_f16_e32 v86, v86, v134
	v_sub_f16_e32 v85, v85, v247
	;; [unrolled: 1-line block ×3, first 2 shown]
	v_fma_f16 v118, v220, v63, -v118
	v_add_f16_e32 v220, v136, v122
	v_sub_f16_e32 v122, v122, v136
	v_add_f16_e32 v136, v115, v75
	v_add_f16_e32 v224, v87, v74
	;; [unrolled: 1-line block ×3, first 2 shown]
	v_sub_f16_e32 v118, v118, v245
	v_sub_f16_e32 v245, v66, v6
	v_add_f16_e32 v136, v220, v136
	v_add_f16_e32 v244, v66, v6
	;; [unrolled: 1-line block ×3, first 2 shown]
	v_sub_f16_e32 v66, v5, v66
	v_add_f16_e32 v246, v67, v7
	v_add_f16_sdwa v237, v136, v116 dst_sel:DWORD dst_unused:UNUSED_PAD src0_sel:DWORD src1_sel:WORD_1
	v_sub_f16_e32 v67, v8, v67
	v_add_f16_e32 v116, v224, v116
	v_mul_f16_e32 v245, 0xb846, v245
	v_mul_f16_e32 v247, 0xb846, v247
	v_lshlrev_b32_e32 v241, 16, v237
	v_fmac_f16_e32 v237, 0xbcab, v136
	v_sub_f16_e32 v136, v133, v236
	v_add_f16_e32 v244, v244, v5
	v_add_f16_e32 v246, v246, v8
	v_or_b32_sdwa v241, v241, v116 dst_sel:DWORD dst_unused:UNUSED_PAD src0_sel:DWORD src1_sel:WORD_0
	v_fmac_f16_e32 v116, 0xbcab, v224
	v_sub_f16_e32 v224, v236, v135
	v_sub_f16_e32 v236, v238, v240
	;; [unrolled: 1-line block ×3, first 2 shown]
	v_mul_f16_e32 v136, 0x3a52, v136
	v_fmamk_f16 v250, v67, 0x3574, v247
	v_fmamk_f16 v251, v66, 0x3574, v245
	v_mul_f16_e32 v236, 0x3a52, v236
	v_sub_f16_e32 v2, v74, v134
	v_fmamk_f16 v248, v224, 0x2b26, v136
	v_fmac_f16_e32 v250, 0x370e, v246
	v_fmac_f16_e32 v251, 0x370e, v244
	v_fmamk_f16 v249, v240, 0x2b26, v236
	v_sub_f16_e32 v3, v75, v220
	v_add_f16_e32 v248, v248, v242
	v_sub_f16_e32 v11, v122, v86
	v_sub_f16_e32 v12, v134, v87
	v_add_f16_e32 v249, v249, v243
	v_sub_f16_e32 v134, v220, v115
	v_add_f16_e32 v0, v250, v248
	v_add_f16_e32 v220, v118, v85
	v_sub_f16_e32 v9, v70, v118
	v_sub_f16_e32 v1, v249, v251
	v_add_f16_e32 v10, v122, v86
	v_mul_f16_e32 v2, 0x3a52, v2
	v_mul_f16_e32 v3, 0x3a52, v3
	;; [unrolled: 1-line block ×3, first 2 shown]
	v_pack_b32_f16 v1, v0, v1
	v_sub_f16_e32 v0, v118, v85
	v_sub_f16_e32 v118, v71, v122
	v_add_f16_e32 v122, v220, v70
	v_add_f16_e32 v10, v10, v71
	v_fmamk_f16 v220, v12, 0x2b26, v2
	v_mul_f16_e32 v4, 0xb846, v0
	v_fmamk_f16 v218, v134, 0x2b26, v3
	v_fmamk_f16 v0, v118, 0x3574, v11
	v_sub_f16_e32 v7, v7, v8
	v_add_f16_e32 v220, v220, v116
	v_fmamk_f16 v13, v9, 0x3574, v4
	v_add_f16_e32 v218, v218, v237
	v_fmac_f16_e32 v0, 0x370e, v10
	v_mul_f16_e32 v12, 0x2b26, v12
	v_fmac_f16_e32 v13, 0x370e, v122
	v_add_f16_e32 v14, v0, v220
	v_sub_f16_e32 v0, v220, v0
	s_waitcnt lgkmcnt(8)
	v_lshrrev_b32_e32 v220, 16, v231
	v_sub_f16_e32 v15, v218, v13
	v_pack_b32_f16 v14, v14, v15
	v_mul_f16_e32 v15, 0xbb00, v7
	v_fma_f16 v7, v7, 0x3b00, -v247
	ds_write2_b32 v193, v1, v14 offset0:136 offset1:185
	v_sub_f16_e32 v1, v6, v5
	v_sub_f16_e32 v14, v85, v70
	;; [unrolled: 1-line block ×5, first 2 shown]
	v_mul_f16_e32 v8, 0xbb00, v1
	v_mul_f16_e32 v71, 0xbb00, v14
	v_fmac_f16_e32 v15, 0xb574, v67
	v_sub_f16_e32 v67, v115, v75
	v_fma_f16 v75, v6, 0xb9e0, -v236
	v_fmac_f16_e32 v8, 0xb574, v66
	v_sub_f16_e32 v66, v87, v74
	v_fmac_f16_e32 v71, 0xb574, v9
	v_mul_f16_e32 v9, 0xbb00, v70
	v_fma_f16 v74, v5, 0xb9e0, -v136
	v_add_f16_e32 v75, v75, v243
	v_fmac_f16_e32 v15, 0x370e, v246
	v_fmac_f16_e32 v8, 0x370e, v244
	;; [unrolled: 1-line block ×3, first 2 shown]
	v_add_f16_e32 v74, v74, v242
	v_fma_f16 v2, v66, 0xb9e0, -v2
	v_fma_f16 v3, v67, 0xb9e0, -v3
	v_sub_f16_e32 v86, v75, v8
	v_fmac_f16_e32 v9, 0x370e, v10
	v_add_f16_e32 v85, v15, v74
	v_add_f16_e32 v2, v2, v116
	;; [unrolled: 1-line block ×3, first 2 shown]
	v_fmac_f16_e32 v71, 0x370e, v122
	v_fma_f16 v12, v66, 0x39e0, -v12
	v_pack_b32_f16 v85, v85, v86
	v_add_f16_e32 v86, v9, v2
	v_mul_f16_e32 v66, 0x2b26, v134
	v_sub_f16_e32 v87, v3, v71
	v_fma_f16 v1, v1, 0x3b00, -v245
	v_fma_f16 v4, v14, 0x3b00, -v4
	;; [unrolled: 1-line block ×4, first 2 shown]
	v_pack_b32_f16 v86, v86, v87
	v_fmac_f16_e32 v1, 0x370e, v244
	v_fmac_f16_e32 v7, 0x370e, v246
	v_add_f16_e32 v12, v12, v116
	v_add_f16_e32 v14, v66, v237
	ds_write2_b32 v181, v85, v86 offset0:95 offset1:144
	v_mul_f16_e32 v85, 0x2b26, v224
	v_fmac_f16_e32 v4, 0x370e, v122
	v_fmac_f16_e32 v11, 0x370e, v10
	v_sub_f16_e32 v2, v2, v9
	v_add_f16_e32 v3, v71, v3
	v_fma_f16 v5, v5, 0x39e0, -v85
	v_mul_f16_e32 v85, 0x2b26, v240
	v_add_f16_e32 v67, v4, v14
	v_sub_f16_e32 v4, v14, v4
	v_pack_b32_f16 v2, v2, v3
	v_add_f16_e32 v5, v5, v242
	v_fma_f16 v6, v6, 0x39e0, -v85
	v_add_f16_e32 v3, v13, v218
	v_lshrrev_b32_e32 v122, 16, v227
	v_lshrrev_b32_e32 v135, 16, v229
	v_sub_f16_e32 v10, v5, v7
	v_add_f16_e32 v6, v6, v243
	v_add_f16_e32 v5, v7, v5
	v_pack_b32_f16 v0, v0, v3
	v_lshrrev_b32_e32 v3, 16, v221
	v_add_f16_e32 v66, v1, v6
	v_sub_f16_e32 v1, v6, v1
	v_add_f16_e32 v6, v11, v12
	v_pack_b32_f16 v10, v10, v66
	v_pack_b32_f16 v1, v5, v1
	;; [unrolled: 1-line block ×3, first 2 shown]
	v_sub_f16_e32 v66, v12, v11
	v_lshrrev_b32_e32 v6, 16, v225
	ds_write2_b32 v184, v1, v4 offset0:141 offset1:190
	v_sub_f16_e32 v1, v74, v15
	v_add_f16_e32 v4, v8, v75
	v_pack_b32_f16 v66, v66, v67
	v_pack_b32_f16 v1, v1, v4
	ds_write2_b32 v183, v10, v66 offset0:54 offset1:103
	v_lshrrev_b32_e32 v10, 16, v230
	ds_write2_b32 v222, v1, v2 offset0:100 offset1:149
	v_sub_f16_e32 v1, v248, v250
	v_add_f16_e32 v2, v251, v249
	v_mov_b32_e32 v222, v23
	v_pack_b32_f16 v1, v1, v2
	ds_write2_b32 v182, v1, v0 offset0:59 offset1:108
	s_clause 0x1
	global_load_dwordx2 v[115:116], v[64:65], off offset:1360
	global_load_dwordx4 v[64:67], v[64:65], off offset:1344
	v_lshrrev_b32_e32 v0, 16, v119
	s_waitcnt vmcnt(1)
	v_mul_f16_sdwa v8, v225, v116 dst_sel:DWORD dst_unused:UNUSED_PAD src0_sel:DWORD src1_sel:WORD_1
	s_waitcnt vmcnt(0)
	v_mul_f16_sdwa v2, v119, v65 dst_sel:DWORD dst_unused:UNUSED_PAD src0_sel:DWORD src1_sel:WORD_1
	v_mul_f16_sdwa v5, v221, v67 dst_sel:DWORD dst_unused:UNUSED_PAD src0_sel:DWORD src1_sel:WORD_1
	;; [unrolled: 1-line block ×5, first 2 shown]
	v_fmac_f16_e32 v2, v0, v65
	v_fmac_f16_e32 v5, v3, v67
	v_lshrrev_b32_e32 v0, 16, v226
	v_mul_f16_sdwa v3, v226, v64 dst_sel:DWORD dst_unused:UNUSED_PAD src0_sel:DWORD src1_sel:WORD_1
	v_mul_f16_sdwa v7, v6, v116 dst_sel:DWORD dst_unused:UNUSED_PAD src0_sel:DWORD src1_sel:WORD_1
	v_fmac_f16_e32 v8, v6, v116
	v_lshrrev_b32_e32 v6, 16, v228
	v_mul_f16_sdwa v9, v228, v66 dst_sel:DWORD dst_unused:UNUSED_PAD src0_sel:DWORD src1_sel:WORD_1
	v_fmac_f16_e32 v3, v0, v64
	v_mul_f16_sdwa v0, v0, v64 dst_sel:DWORD dst_unused:UNUSED_PAD src0_sel:DWORD src1_sel:WORD_1
	v_fmac_f16_e32 v11, v10, v115
	v_mul_f16_sdwa v10, v10, v115 dst_sel:DWORD dst_unused:UNUSED_PAD src0_sel:DWORD src1_sel:WORD_1
	v_fma_f16 v1, v119, v65, -v1
	v_fma_f16 v7, v225, v116, -v7
	v_fmac_f16_e32 v9, v6, v66
	v_mul_f16_sdwa v6, v6, v66 dst_sel:DWORD dst_unused:UNUSED_PAD src0_sel:DWORD src1_sel:WORD_1
	v_fma_f16 v0, v226, v64, -v0
	v_fma_f16 v10, v230, v115, -v10
	v_add_f16_e32 v12, v3, v8
	v_add_f16_e32 v13, v2, v11
	v_fma_f16 v4, v221, v67, -v4
	v_fma_f16 v6, v228, v66, -v6
	v_add_f16_e32 v14, v9, v5
	v_add_f16_e32 v74, v0, v7
	;; [unrolled: 1-line block ×5, first 2 shown]
	v_sub_f16_e32 v0, v0, v7
	v_sub_f16_e32 v4, v4, v6
	v_add_f16_e32 v15, v14, v15
	v_add_f16_e32 v70, v75, v74
	s_waitcnt lgkmcnt(10)
	v_lshrrev_b32_e32 v6, 16, v120
	v_sub_f16_e32 v1, v1, v10
	v_sub_f16_e32 v2, v2, v11
	v_add_f16_sdwa v87, v15, v117 dst_sel:DWORD dst_unused:UNUSED_PAD src0_sel:DWORD src1_sel:WORD_1
	v_add_f16_e32 v86, v85, v70
	v_lshrrev_b32_e32 v10, 16, v232
	v_sub_f16_e32 v5, v5, v9
	v_sub_f16_e32 v3, v3, v8
	v_lshlrev_b32_e32 v70, 16, v87
	v_add_f16_e32 v119, v86, v117
	v_fmac_f16_e32 v87, 0xbcab, v15
	v_sub_f16_e32 v226, v5, v2
	v_add_f16_e32 v225, v5, v2
	v_sub_f16_e32 v5, v3, v5
	v_or_b32_sdwa v70, v70, v119 dst_sel:DWORD dst_unused:UNUSED_PAD src0_sel:DWORD src1_sel:WORD_0
	v_fmac_f16_e32 v119, 0xbcab, v86
	v_mul_f16_e32 v226, 0xb846, v226
	v_add_f16_e32 v225, v225, v3
	v_sub_f16_e32 v2, v2, v3
	ds_write2_b32 v132, v241, v70 offset0:98 offset1:147
	s_clause 0x1
	global_load_dwordx2 v[117:118], v[68:69], off offset:1360
	global_load_dwordx4 v[68:71], v[68:69], off offset:1344
	s_waitcnt vmcnt(1)
	v_mul_f16_sdwa v7, v120, v118 dst_sel:DWORD dst_unused:UNUSED_PAD src0_sel:DWORD src1_sel:WORD_1
	s_waitcnt vmcnt(0)
	v_mul_f16_sdwa v134, v227, v68 dst_sel:DWORD dst_unused:UNUSED_PAD src0_sel:DWORD src1_sel:WORD_1
	v_mul_f16_sdwa v224, v231, v117 dst_sel:DWORD dst_unused:UNUSED_PAD src0_sel:DWORD src1_sel:WORD_1
	;; [unrolled: 1-line block ×4, first 2 shown]
	v_fmac_f16_e32 v7, v6, v118
	v_mul_f16_sdwa v6, v6, v118 dst_sel:DWORD dst_unused:UNUSED_PAD src0_sel:DWORD src1_sel:WORD_1
	v_mul_f16_sdwa v218, v229, v70 dst_sel:DWORD dst_unused:UNUSED_PAD src0_sel:DWORD src1_sel:WORD_1
	v_mul_f16_sdwa v221, v220, v117 dst_sel:DWORD dst_unused:UNUSED_PAD src0_sel:DWORD src1_sel:WORD_1
	v_fmac_f16_e32 v134, v122, v68
	v_fmac_f16_e32 v224, v220, v117
	v_fma_f16 v6, v120, v118, -v6
	v_fmac_f16_e32 v11, v10, v69
	v_mul_f16_sdwa v10, v10, v69 dst_sel:DWORD dst_unused:UNUSED_PAD src0_sel:DWORD src1_sel:WORD_1
	v_lshrrev_b32_e32 v120, 16, v234
	v_mul_f16_sdwa v122, v234, v71 dst_sel:DWORD dst_unused:UNUSED_PAD src0_sel:DWORD src1_sel:WORD_1
	v_fma_f16 v133, v227, v68, -v133
	v_mul_f16_sdwa v136, v135, v70 dst_sel:DWORD dst_unused:UNUSED_PAD src0_sel:DWORD src1_sel:WORD_1
	v_fma_f16 v221, v231, v117, -v221
	v_fmac_f16_e32 v218, v135, v70
	v_add_f16_e32 v9, v134, v7
	v_fma_f16 v10, v232, v69, -v10
	v_add_f16_e32 v86, v11, v224
	v_fmac_f16_e32 v122, v120, v71
	v_mul_f16_sdwa v120, v120, v71 dst_sel:DWORD dst_unused:UNUSED_PAD src0_sel:DWORD src1_sel:WORD_1
	v_fma_f16 v136, v229, v70, -v136
	v_add_f16_e32 v8, v133, v6
	v_sub_f16_e32 v7, v134, v7
	v_add_f16_e32 v15, v10, v221
	v_fma_f16 v120, v234, v71, -v120
	v_add_f16_e32 v134, v218, v122
	v_add_f16_e32 v135, v86, v9
	v_sub_f16_e32 v6, v133, v6
	v_sub_f16_e32 v122, v122, v218
	v_add_f16_e32 v133, v136, v120
	v_sub_f16_e32 v120, v120, v136
	v_add_f16_e32 v135, v134, v135
	v_add_f16_e32 v136, v15, v8
	v_sub_f16_e32 v10, v10, v221
	v_sub_f16_e32 v11, v11, v224
	v_add_f16_e32 v221, v4, v1
	v_add_f16_sdwa v218, v135, v78 dst_sel:DWORD dst_unused:UNUSED_PAD src0_sel:DWORD src1_sel:WORD_1
	v_add_f16_e32 v136, v133, v136
	v_sub_f16_e32 v224, v4, v1
	v_sub_f16_e32 v4, v0, v4
	v_add_f16_e32 v221, v221, v0
	v_lshlrev_b32_e32 v220, 16, v218
	v_add_f16_e32 v78, v136, v78
	v_fmac_f16_e32 v218, 0xbcab, v135
	v_sub_f16_e32 v135, v74, v85
	v_sub_f16_e32 v85, v85, v75
	v_mul_f16_e32 v224, 0xb846, v224
	v_or_b32_sdwa v220, v220, v78 dst_sel:DWORD dst_unused:UNUSED_PAD src0_sel:DWORD src1_sel:WORD_0
	v_fmac_f16_e32 v78, 0xbcab, v136
	v_sub_f16_e32 v136, v12, v14
	v_sub_f16_e32 v14, v14, v13
	v_mul_f16_e32 v135, 0x3a52, v135
	v_sub_f16_e32 v0, v1, v0
	v_fmamk_f16 v229, v5, 0x3574, v226
	v_mul_f16_e32 v136, 0x3a52, v136
	v_fmamk_f16 v230, v4, 0x3574, v224
	v_fmamk_f16 v227, v85, 0x2b26, v135
	v_add_f16_e32 v236, v120, v10
	v_mul_f16_e32 v3, 0xbb00, v0
	v_fmamk_f16 v228, v14, 0x2b26, v136
	v_fmac_f16_e32 v229, 0x370e, v225
	v_add_f16_e32 v227, v227, v119
	v_fmac_f16_e32 v230, 0x370e, v221
	v_sub_f16_e32 v237, v120, v10
	v_add_f16_e32 v228, v228, v87
	v_sub_f16_e32 v120, v6, v120
	v_add_f16_e32 v238, v122, v11
	v_add_f16_e32 v236, v236, v6
	v_sub_f16_e32 v1, v75, v74
	v_sub_f16_e32 v12, v13, v12
	v_fmac_f16_e32 v3, 0xb574, v4
	v_sub_f16_e32 v4, v10, v6
	v_mul_f16_e32 v6, 0xbb00, v2
	v_add_f16_e32 v231, v229, v227
	v_sub_f16_e32 v232, v228, v230
	v_sub_f16_e32 v239, v122, v11
	;; [unrolled: 1-line block ×3, first 2 shown]
	v_add_f16_e32 v238, v238, v7
	v_fmac_f16_e32 v6, 0xb574, v5
	v_sub_f16_e32 v7, v11, v7
	v_fma_f16 v11, v1, 0xb9e0, -v135
	v_fma_f16 v13, v12, 0xb9e0, -v136
	v_pack_b32_f16 v231, v231, v232
	v_sub_f16_e32 v232, v8, v133
	v_sub_f16_e32 v234, v9, v134
	v_add_f16_e32 v11, v11, v119
	v_add_f16_e32 v13, v13, v87
	v_fmac_f16_e32 v6, 0x370e, v225
	v_fmac_f16_e32 v3, 0x370e, v221
	v_sub_f16_e32 v133, v133, v15
	v_mul_f16_e32 v232, 0x3a52, v232
	v_mul_f16_e32 v234, 0x3a52, v234
	v_sub_f16_e32 v5, v15, v8
	v_sub_f16_e32 v8, v86, v9
	v_mul_f16_e32 v9, 0xbb00, v4
	v_mul_f16_e32 v10, 0xbb00, v7
	v_add_f16_e32 v15, v6, v11
	v_sub_f16_e32 v74, v13, v3
	v_fma_f16 v75, v8, 0xb9e0, -v234
	v_fmac_f16_e32 v9, 0xb574, v120
	v_fmac_f16_e32 v10, 0xb574, v122
	v_mul_f16_e32 v237, 0xb846, v237
	v_pack_b32_f16 v15, v15, v74
	v_fma_f16 v74, v5, 0xb9e0, -v232
	v_add_f16_e32 v75, v75, v218
	v_fmac_f16_e32 v10, 0x370e, v238
	v_fmac_f16_e32 v9, 0x370e, v236
	v_sub_f16_e32 v134, v134, v86
	v_add_f16_e32 v74, v74, v78
	v_fmamk_f16 v243, v120, 0x3574, v237
	v_mul_f16_e32 v14, 0x2b26, v14
	v_sub_f16_e32 v120, v75, v9
	v_mul_f16_e32 v239, 0xb846, v239
	v_add_f16_e32 v86, v10, v74
	v_fma_f16 v0, v0, 0x3b00, -v224
	v_fma_f16 v12, v12, 0x39e0, -v14
	v_mul_f16_e32 v14, 0x2b26, v133
	v_fma_f16 v2, v2, 0x3b00, -v226
	v_pack_b32_f16 v86, v86, v120
	v_fma_f16 v4, v4, 0x3b00, -v237
	v_fma_f16 v7, v7, 0x3b00, -v239
	;; [unrolled: 1-line block ×3, first 2 shown]
	v_mul_f16_e32 v14, 0x2b26, v134
	ds_write2_b32 v186, v15, v86 offset0:65 offset1:114
	v_mul_f16_e32 v15, 0x2b26, v85
	v_fmamk_f16 v240, v133, 0x2b26, v232
	v_add_f16_e32 v12, v12, v87
	v_fma_f16 v8, v8, 0x39e0, -v14
	v_fmac_f16_e32 v0, 0x370e, v221
	v_fma_f16 v1, v1, 0x39e0, -v15
	v_fmac_f16_e32 v2, 0x370e, v225
	v_add_f16_e32 v5, v5, v78
	v_add_f16_e32 v8, v8, v218
	v_fmac_f16_e32 v4, 0x370e, v236
	v_add_f16_e32 v1, v1, v119
	v_fmac_f16_e32 v7, 0x370e, v238
	v_add_f16_e32 v240, v240, v78
	v_add_f16_e32 v15, v0, v12
	;; [unrolled: 1-line block ×3, first 2 shown]
	v_sub_f16_e32 v14, v1, v2
	v_add_f16_e32 v1, v2, v1
	v_sub_f16_e32 v0, v12, v0
	v_add_f16_e32 v2, v7, v5
	v_sub_f16_e32 v4, v8, v4
	v_fmamk_f16 v241, v134, 0x2b26, v234
	v_fmamk_f16 v242, v122, 0x3574, v239
	v_pack_b32_f16 v0, v1, v0
	v_fmac_f16_e32 v243, 0x370e, v236
	v_pack_b32_f16 v1, v2, v4
	v_sub_f16_e32 v2, v74, v10
	v_add_f16_e32 v241, v241, v218
	v_fmac_f16_e32 v242, 0x370e, v238
	v_pack_b32_f16 v14, v14, v15
	ds_write2_b32 v20, v0, v1 offset0:111 offset1:160
	v_sub_f16_e32 v0, v11, v6
	v_add_f16_e32 v1, v3, v13
	v_add_f16_e32 v3, v9, v75
	v_add_f16_e32 v244, v242, v240
	v_sub_f16_e32 v245, v241, v243
	v_sub_f16_e32 v15, v5, v7
	v_pack_b32_f16 v0, v0, v1
	v_pack_b32_f16 v1, v2, v3
	v_sub_f16_e32 v2, v240, v242
	v_add_f16_e32 v3, v243, v241
	v_pack_b32_f16 v244, v244, v245
	v_pack_b32_f16 v15, v15, v78
	ds_write2_b32 v188, v0, v1 offset0:70 offset1:119
	v_sub_f16_e32 v0, v227, v229
	v_add_f16_e32 v1, v230, v228
	ds_write2_b32 v191, v231, v244 offset0:106 offset1:155
	ds_write2_b32 v183, v14, v15 offset0:152 offset1:201
	v_lshrrev_b32_e32 v6, 16, v121
	s_waitcnt lgkmcnt(13)
	v_lshrrev_b32_e32 v10, 16, v126
	v_pack_b32_f16 v0, v0, v1
	v_pack_b32_f16 v1, v2, v3
	v_lshrrev_b32_e32 v3, 16, v235
	v_lshrrev_b32_e32 v133, 16, v131
	;; [unrolled: 1-line block ×4, first 2 shown]
	ds_write2_b32 v182, v0, v1 offset0:157 offset1:206
	s_clause 0x1
	global_load_dwordx2 v[119:120], v[72:73], off offset:1360
	global_load_dwordx4 v[72:75], v[72:73], off offset:1344
	v_lshrrev_b32_e32 v0, 16, v233
	v_lshrrev_b32_e32 v218, 16, v129
	;; [unrolled: 1-line block ×3, first 2 shown]
	s_waitcnt vmcnt(1)
	v_mul_f16_sdwa v8, v121, v120 dst_sel:DWORD dst_unused:UNUSED_PAD src0_sel:DWORD src1_sel:WORD_1
	s_waitcnt vmcnt(0)
	v_mul_f16_sdwa v2, v233, v73 dst_sel:DWORD dst_unused:UNUSED_PAD src0_sel:DWORD src1_sel:WORD_1
	v_mul_f16_sdwa v5, v235, v75 dst_sel:DWORD dst_unused:UNUSED_PAD src0_sel:DWORD src1_sel:WORD_1
	;; [unrolled: 1-line block ×5, first 2 shown]
	v_fmac_f16_e32 v2, v0, v73
	v_fmac_f16_e32 v5, v3, v75
	v_lshrrev_b32_e32 v0, 16, v130
	v_mul_f16_sdwa v3, v130, v72 dst_sel:DWORD dst_unused:UNUSED_PAD src0_sel:DWORD src1_sel:WORD_1
	v_mul_f16_sdwa v7, v6, v120 dst_sel:DWORD dst_unused:UNUSED_PAD src0_sel:DWORD src1_sel:WORD_1
	v_fmac_f16_e32 v8, v6, v120
	v_lshrrev_b32_e32 v6, 16, v128
	v_mul_f16_sdwa v9, v128, v74 dst_sel:DWORD dst_unused:UNUSED_PAD src0_sel:DWORD src1_sel:WORD_1
	v_fmac_f16_e32 v3, v0, v72
	v_mul_f16_sdwa v0, v0, v72 dst_sel:DWORD dst_unused:UNUSED_PAD src0_sel:DWORD src1_sel:WORD_1
	v_fmac_f16_e32 v11, v10, v119
	v_mul_f16_sdwa v10, v10, v119 dst_sel:DWORD dst_unused:UNUSED_PAD src0_sel:DWORD src1_sel:WORD_1
	v_fma_f16 v1, v233, v73, -v1
	v_fma_f16 v7, v121, v120, -v7
	v_fmac_f16_e32 v9, v6, v74
	v_mul_f16_sdwa v6, v6, v74 dst_sel:DWORD dst_unused:UNUSED_PAD src0_sel:DWORD src1_sel:WORD_1
	v_fma_f16 v0, v130, v72, -v0
	v_fma_f16 v10, v126, v119, -v10
	v_add_f16_e32 v12, v3, v8
	v_add_f16_e32 v13, v2, v11
	v_fma_f16 v4, v235, v75, -v4
	v_fma_f16 v6, v128, v74, -v6
	v_add_f16_e32 v14, v9, v5
	v_add_f16_e32 v85, v0, v7
	;; [unrolled: 1-line block ×5, first 2 shown]
	v_sub_f16_e32 v3, v3, v8
	v_sub_f16_e32 v1, v1, v10
	v_add_f16_e32 v15, v14, v15
	v_add_f16_e32 v78, v86, v85
	v_sub_f16_e32 v4, v4, v6
	v_sub_f16_e32 v5, v5, v9
	;; [unrolled: 1-line block ×3, first 2 shown]
	v_add_f16_sdwa v128, v15, v79 dst_sel:DWORD dst_unused:UNUSED_PAD src0_sel:DWORD src1_sel:WORD_1
	v_add_f16_e32 v126, v87, v78
	v_sub_f16_e32 v2, v2, v11
	v_lshlrev_b32_e32 v78, 16, v128
	v_add_f16_e32 v130, v126, v79
	v_fmac_f16_e32 v128, 0xbcab, v15
	v_or_b32_sdwa v78, v78, v130 dst_sel:DWORD dst_unused:UNUSED_PAD src0_sel:DWORD src1_sel:WORD_0
	v_fmac_f16_e32 v130, 0xbcab, v126
	ds_write2_b32 v132, v220, v78 offset0:196 offset1:245
	s_clause 0x1
	global_load_dwordx2 v[121:122], v[76:77], off offset:1360
	global_load_dwordx4 v[76:79], v[76:77], off offset:1344
	s_waitcnt vmcnt(1)
	v_mul_f16_sdwa v226, v225, v121 dst_sel:DWORD dst_unused:UNUSED_PAD src0_sel:DWORD src1_sel:WORD_1
	s_waitcnt vmcnt(0)
	v_mul_f16_sdwa v134, v133, v76 dst_sel:DWORD dst_unused:UNUSED_PAD src0_sel:DWORD src1_sel:WORD_1
	v_mul_f16_sdwa v136, v135, v77 dst_sel:DWORD dst_unused:UNUSED_PAD src0_sel:DWORD src1_sel:WORD_1
	;; [unrolled: 1-line block ×4, first 2 shown]
	v_fma_f16 v226, v127, v121, -v226
	v_fma_f16 v134, v131, v76, -v134
	v_mul_f16_sdwa v131, v131, v76 dst_sel:DWORD dst_unused:UNUSED_PAD src0_sel:DWORD src1_sel:WORD_1
	v_fma_f16 v136, v125, v77, -v136
	v_mul_f16_sdwa v125, v125, v77 dst_sel:DWORD dst_unused:UNUSED_PAD src0_sel:DWORD src1_sel:WORD_1
	v_mul_f16_sdwa v127, v127, v121 dst_sel:DWORD dst_unused:UNUSED_PAD src0_sel:DWORD src1_sel:WORD_1
	v_fma_f16 v220, v129, v78, -v220
	v_fmac_f16_e32 v131, v133, v76
	v_lshrrev_b32_e32 v133, 16, v80
	v_fmac_f16_e32 v125, v135, v77
	v_mul_f16_sdwa v129, v129, v78 dst_sel:DWORD dst_unused:UNUSED_PAD src0_sel:DWORD src1_sel:WORD_1
	v_fma_f16 v224, v124, v79, -v224
	v_mul_f16_sdwa v124, v124, v79 dst_sel:DWORD dst_unused:UNUSED_PAD src0_sel:DWORD src1_sel:WORD_1
	v_mul_f16_sdwa v135, v133, v122 dst_sel:DWORD dst_unused:UNUSED_PAD src0_sel:DWORD src1_sel:WORD_1
	v_fmac_f16_e32 v127, v225, v121
	v_fmac_f16_e32 v129, v218, v78
	v_add_f16_e32 v10, v136, v226
	v_fmac_f16_e32 v124, v221, v79
	v_fma_f16 v135, v80, v122, -v135
	v_mul_f16_sdwa v80, v80, v122 dst_sel:DWORD dst_unused:UNUSED_PAD src0_sel:DWORD src1_sel:WORD_1
	v_add_f16_e32 v15, v125, v127
	v_sub_f16_e32 v11, v136, v226
	v_sub_f16_e32 v126, v224, v220
	v_add_f16_e32 v6, v134, v135
	v_fmac_f16_e32 v80, v133, v122
	v_sub_f16_e32 v7, v134, v135
	v_add_f16_e32 v135, v4, v1
	v_sub_f16_e32 v136, v4, v1
	v_sub_f16_e32 v4, v0, v4
	v_add_f16_e32 v8, v131, v80
	v_sub_f16_e32 v9, v131, v80
	;; [unrolled: 3-line block ×3, first 2 shown]
	v_add_f16_e32 v129, v15, v8
	v_add_f16_e32 v125, v220, v224
	;; [unrolled: 1-line block ×3, first 2 shown]
	v_sub_f16_e32 v220, v5, v2
	v_add_f16_e32 v218, v5, v2
	v_add_f16_e32 v129, v127, v129
	v_sub_f16_e32 v5, v3, v5
	v_add_f16_e32 v131, v125, v131
	v_add_f16_e32 v135, v135, v0
	v_mul_f16_e32 v136, 0xb846, v136
	v_add_f16_sdwa v133, v129, v123 dst_sel:DWORD dst_unused:UNUSED_PAD src0_sel:DWORD src1_sel:WORD_1
	v_mul_f16_e32 v220, 0xb846, v220
	v_add_f16_e32 v123, v131, v123
	v_sub_f16_e32 v0, v1, v0
	v_add_f16_e32 v218, v218, v3
	v_lshlrev_b32_e32 v134, 16, v133
	v_fmac_f16_e32 v133, 0xbcab, v129
	v_sub_f16_e32 v129, v85, v87
	v_sub_f16_e32 v87, v87, v86
	v_fmamk_f16 v225, v5, 0x3574, v220
	v_or_b32_sdwa v134, v134, v123 dst_sel:DWORD dst_unused:UNUSED_PAD src0_sel:DWORD src1_sel:WORD_0
	v_fmac_f16_e32 v123, 0xbcab, v131
	v_sub_f16_e32 v131, v12, v14
	v_sub_f16_e32 v14, v14, v13
	v_mul_f16_e32 v129, 0x3a52, v129
	v_fmamk_f16 v226, v4, 0x3574, v136
	v_add_f16_e32 v230, v126, v11
	v_mul_f16_e32 v131, 0x3a52, v131
	v_sub_f16_e32 v2, v2, v3
	v_fmamk_f16 v221, v87, 0x2b26, v129
	v_mul_f16_e32 v3, 0xbb00, v0
	v_fmac_f16_e32 v225, 0x370e, v218
	v_fmamk_f16 v224, v14, 0x2b26, v131
	v_fmac_f16_e32 v226, 0x370e, v135
	v_add_f16_e32 v221, v221, v130
	v_sub_f16_e32 v231, v126, v11
	v_sub_f16_e32 v126, v7, v126
	v_add_f16_e32 v224, v224, v128
	v_add_f16_e32 v230, v230, v7
	v_sub_f16_e32 v1, v86, v85
	v_sub_f16_e32 v12, v13, v12
	v_fmac_f16_e32 v3, 0xb574, v4
	v_sub_f16_e32 v4, v11, v7
	v_mul_f16_e32 v7, 0xbb00, v2
	v_add_f16_e32 v227, v225, v221
	v_sub_f16_e32 v228, v224, v226
	v_fma_f16 v11, v1, 0xb9e0, -v129
	v_fma_f16 v13, v12, 0xb9e0, -v131
	v_fmac_f16_e32 v7, 0xb574, v5
	v_sub_f16_e32 v229, v8, v127
	v_pack_b32_f16 v227, v227, v228
	v_sub_f16_e32 v228, v6, v125
	v_add_f16_e32 v232, v124, v80
	v_sub_f16_e32 v5, v10, v6
	v_sub_f16_e32 v6, v15, v8
	;; [unrolled: 1-line block ×3, first 2 shown]
	v_add_f16_e32 v11, v11, v130
	v_add_f16_e32 v13, v13, v128
	v_fmac_f16_e32 v7, 0x370e, v218
	v_fmac_f16_e32 v3, 0x370e, v135
	v_sub_f16_e32 v125, v125, v10
	v_sub_f16_e32 v127, v127, v15
	;; [unrolled: 1-line block ×4, first 2 shown]
	v_mul_f16_e32 v228, 0x3a52, v228
	v_add_f16_e32 v232, v232, v9
	v_mul_f16_e32 v229, 0x3a52, v229
	v_mul_f16_e32 v9, 0xbb00, v4
	;; [unrolled: 1-line block ×3, first 2 shown]
	v_add_f16_e32 v15, v7, v11
	v_sub_f16_e32 v80, v13, v3
	v_fma_f16 v85, v6, 0xb9e0, -v229
	v_fmac_f16_e32 v9, 0xb574, v126
	v_fmac_f16_e32 v10, 0xb574, v124
	v_mul_f16_e32 v233, 0xb846, v233
	v_pack_b32_f16 v15, v15, v80
	v_fma_f16 v80, v5, 0xb9e0, -v228
	v_add_f16_e32 v85, v85, v133
	v_fmac_f16_e32 v10, 0x370e, v232
	v_fmac_f16_e32 v9, 0x370e, v230
	v_fmamk_f16 v236, v124, 0x3574, v233
	v_add_f16_e32 v80, v80, v123
	v_mul_f16_e32 v14, 0x2b26, v14
	v_mul_f16_e32 v231, 0xb846, v231
	v_sub_f16_e32 v124, v85, v9
	v_fma_f16 v0, v0, 0x3b00, -v136
	v_add_f16_e32 v86, v10, v80
	v_fma_f16 v12, v12, 0x39e0, -v14
	v_mul_f16_e32 v14, 0x2b26, v125
	v_fma_f16 v2, v2, 0x3b00, -v220
	v_fma_f16 v4, v4, 0x3b00, -v231
	v_pack_b32_f16 v86, v86, v124
	v_fma_f16 v8, v8, 0x3b00, -v233
	v_fma_f16 v5, v5, 0x39e0, -v14
	v_mul_f16_e32 v14, 0x2b26, v127
	v_add_f16_e32 v12, v12, v128
	ds_write2_b32 v186, v15, v86 offset0:163 offset1:212
	v_mul_f16_e32 v15, 0x2b26, v87
	v_fmac_f16_e32 v0, 0x370e, v135
	v_fma_f16 v6, v6, 0x39e0, -v14
	v_fmac_f16_e32 v2, 0x370e, v218
	v_add_f16_e32 v5, v5, v123
	v_fma_f16 v1, v1, 0x39e0, -v15
	v_fmac_f16_e32 v4, 0x370e, v230
	v_add_f16_e32 v6, v6, v133
	v_fmac_f16_e32 v8, 0x370e, v232
	v_add_f16_e32 v15, v0, v12
	v_add_f16_e32 v1, v1, v130
	v_sub_f16_e32 v0, v12, v0
	v_add_f16_e32 v86, v4, v6
	v_sub_f16_e32 v4, v6, v4
	v_fmamk_f16 v234, v125, 0x2b26, v228
	v_sub_f16_e32 v14, v1, v2
	v_add_f16_e32 v1, v2, v1
	v_add_f16_e32 v2, v8, v5
	v_fmamk_f16 v235, v127, 0x2b26, v229
	v_fmamk_f16 v237, v126, 0x3574, v231
	v_add_f16_e32 v234, v234, v123
	v_pack_b32_f16 v0, v1, v0
	v_pack_b32_f16 v1, v2, v4
	v_sub_f16_e32 v2, v80, v10
	v_add_f16_e32 v235, v235, v133
	v_fmac_f16_e32 v236, 0x370e, v232
	v_fmac_f16_e32 v237, 0x370e, v230
	ds_write2_b32 v192, v0, v1 offset0:81 offset1:130
	v_sub_f16_e32 v0, v11, v7
	v_add_f16_e32 v1, v3, v13
	v_add_f16_e32 v3, v9, v85
	;; [unrolled: 1-line block ×3, first 2 shown]
	v_sub_f16_e32 v239, v235, v237
	v_pack_b32_f16 v14, v14, v15
	v_pack_b32_f16 v0, v0, v1
	;; [unrolled: 1-line block ×3, first 2 shown]
	v_sub_f16_e32 v15, v5, v8
	v_sub_f16_e32 v2, v234, v236
	v_add_f16_e32 v3, v237, v235
	v_pack_b32_f16 v238, v238, v239
	ds_write2_b32 v188, v0, v1 offset0:168 offset1:217
	v_sub_f16_e32 v0, v221, v225
	v_add_f16_e32 v1, v226, v224
	v_pack_b32_f16 v15, v15, v86
	ds_write2_b32 v187, v227, v238 offset0:76 offset1:125
	v_add_co_u32 v123, vcc_lo, 0x2584, v198
	v_pack_b32_f16 v0, v0, v1
	v_pack_b32_f16 v1, v2, v3
	ds_write2_b32 v185, v14, v15 offset0:122 offset1:171
	ds_write2_b32 v21, v0, v1 offset0:127 offset1:176
	ds_write_b32 v132, v134 offset:1176
	s_waitcnt lgkmcnt(0)
	s_barrier
	buffer_gl0_inv
	global_load_dword v81, v[81:82], off offset:1412
	ds_read2_b32 v[125:126], v132 offset1:49
	v_add_co_ci_u32_e32 v124, vcc_lo, 0, v199, vcc_lo
	s_clause 0x5
	global_load_dword v1, v[123:124], off offset:1176
	global_load_dword v2, v[123:124], off offset:1372
	;; [unrolled: 1-line block ×6, first 2 shown]
	v_add_co_u32 v127, vcc_lo, 0x4000, v198
	v_add_co_ci_u32_e32 v128, vcc_lo, 0, v199, vcc_lo
	s_waitcnt lgkmcnt(0)
	v_lshrrev_b32_e32 v0, 16, v125
	s_waitcnt vmcnt(6)
	v_mul_f16_sdwa v7, v125, v81 dst_sel:DWORD dst_unused:UNUSED_PAD src0_sel:DWORD src1_sel:WORD_1
	v_fmac_f16_e32 v7, v0, v81
	v_mul_f16_sdwa v0, v0, v81 dst_sel:DWORD dst_unused:UNUSED_PAD src0_sel:DWORD src1_sel:WORD_1
	v_fma_f16 v0, v125, v81, -v0
	v_pack_b32_f16 v0, v0, v7
	ds_write_b32 v132, v0
	global_load_dword v0, v[123:124], off offset:980
	ds_read2_b32 v[80:81], v132 offset0:196 offset1:245
	s_waitcnt lgkmcnt(0)
	v_lshrrev_b32_e32 v7, 16, v81
	s_waitcnt vmcnt(0)
	v_mul_f16_sdwa v8, v81, v0 dst_sel:DWORD dst_unused:UNUSED_PAD src0_sel:DWORD src1_sel:WORD_1
	v_fmac_f16_e32 v8, v7, v0
	v_mul_f16_sdwa v7, v7, v0 dst_sel:DWORD dst_unused:UNUSED_PAD src0_sel:DWORD src1_sel:WORD_1
	v_fma_f16 v0, v81, v0, -v7
	ds_read2_b32 v[81:82], v193 offset0:38 offset1:87
	v_pack_b32_f16 v0, v0, v8
	s_waitcnt lgkmcnt(0)
	v_lshrrev_b32_e32 v7, 16, v81
	v_mul_f16_sdwa v9, v81, v1 dst_sel:DWORD dst_unused:UNUSED_PAD src0_sel:DWORD src1_sel:WORD_1
	v_fmac_f16_e32 v9, v7, v1
	v_mul_f16_sdwa v7, v7, v1 dst_sel:DWORD dst_unused:UNUSED_PAD src0_sel:DWORD src1_sel:WORD_1
	v_fma_f16 v1, v81, v1, -v7
	v_add_nc_u32_e32 v7, 0x200, v132
	v_add_co_u32 v81, vcc_lo, 0x3000, v198
	v_pack_b32_f16 v1, v1, v9
	ds_write2_b32 v7, v0, v1 offset0:117 offset1:166
	s_clause 0x1
	global_load_dword v0, v[127:128], off offset:1452
	global_load_dword v1, v[127:128], off offset:1256
	ds_read2_b32 v[129:130], v182 offset0:10 offset1:59
	ds_read2_b32 v[133:134], v188 offset0:168 offset1:217
	global_load_dword v9, v[127:128], off offset:1060
	s_waitcnt lgkmcnt(1)
	v_lshrrev_b32_e32 v7, 16, v129
	s_waitcnt vmcnt(2)
	v_mul_f16_sdwa v8, v129, v0 dst_sel:DWORD dst_unused:UNUSED_PAD src0_sel:DWORD src1_sel:WORD_1
	s_waitcnt vmcnt(1) lgkmcnt(0)
	v_mul_f16_sdwa v10, v134, v1 dst_sel:DWORD dst_unused:UNUSED_PAD src0_sel:DWORD src1_sel:WORD_1
	v_fmac_f16_e32 v8, v7, v0
	v_mul_f16_sdwa v7, v7, v0 dst_sel:DWORD dst_unused:UNUSED_PAD src0_sel:DWORD src1_sel:WORD_1
	v_fma_f16 v0, v129, v0, -v7
	v_lshrrev_b32_e32 v7, 16, v134
	v_pack_b32_f16 v0, v0, v8
	v_fmac_f16_e32 v10, v7, v1
	v_mul_f16_sdwa v7, v7, v1 dst_sel:DWORD dst_unused:UNUSED_PAD src0_sel:DWORD src1_sel:WORD_1
	v_mul_f16_sdwa v8, v126, v3 dst_sel:DWORD dst_unused:UNUSED_PAD src0_sel:DWORD src1_sel:WORD_1
	v_fma_f16 v1, v134, v1, -v7
	v_add_nc_u32_e32 v7, 0x1e00, v132
	v_pack_b32_f16 v1, v1, v10
	ds_write2_b32 v7, v1, v0 offset0:89 offset1:138
	v_lshrrev_b32_e32 v0, 16, v82
	v_mul_f16_sdwa v7, v82, v2 dst_sel:DWORD dst_unused:UNUSED_PAD src0_sel:DWORD src1_sel:WORD_1
	v_mul_f16_sdwa v1, v0, v2 dst_sel:DWORD dst_unused:UNUSED_PAD src0_sel:DWORD src1_sel:WORD_1
	v_fmac_f16_e32 v7, v0, v2
	v_lshrrev_b32_e32 v0, 16, v126
	v_fma_f16 v1, v82, v2, -v1
	v_add_co_ci_u32_e32 v82, vcc_lo, 0, v199, vcc_lo
	v_mul_f16_sdwa v2, v0, v3 dst_sel:DWORD dst_unused:UNUSED_PAD src0_sel:DWORD src1_sel:WORD_1
	v_fmac_f16_e32 v8, v0, v3
	v_pack_b32_f16 v1, v1, v7
	v_fma_f16 v2, v126, v3, -v2
	s_clause 0x6
	global_load_dword v0, v[123:124], off offset:1568
	global_load_dword v3, v[123:124], off offset:1764
	;; [unrolled: 1-line block ×7, first 2 shown]
	ds_read2_b32 v[123:124], v193 offset0:136 offset1:185
	ds_read2_b32 v[125:126], v187 offset0:174 offset1:223
	v_pack_b32_f16 v2, v2, v8
	s_waitcnt lgkmcnt(1)
	v_lshrrev_b32_e32 v15, 16, v123
	s_waitcnt vmcnt(6)
	v_mul_f16_sdwa v85, v123, v0 dst_sel:DWORD dst_unused:UNUSED_PAD src0_sel:DWORD src1_sel:WORD_1
	s_waitcnt vmcnt(5)
	v_mul_f16_sdwa v8, v124, v3 dst_sel:DWORD dst_unused:UNUSED_PAD src0_sel:DWORD src1_sel:WORD_1
	v_fmac_f16_e32 v85, v15, v0
	v_mul_f16_sdwa v15, v15, v0 dst_sel:DWORD dst_unused:UNUSED_PAD src0_sel:DWORD src1_sel:WORD_1
	v_fma_f16 v0, v123, v0, -v15
	v_pack_b32_f16 v0, v0, v85
	s_waitcnt vmcnt(4) lgkmcnt(0)
	v_mul_f16_sdwa v85, v126, v10 dst_sel:DWORD dst_unused:UNUSED_PAD src0_sel:DWORD src1_sel:WORD_1
	ds_write2_b32 v193, v1, v0 offset0:87 offset1:136
	global_load_dword v0, v[81:82], off offset:60
	v_lshrrev_b32_e32 v1, 16, v125
	s_waitcnt vmcnt(0)
	v_mul_f16_sdwa v7, v125, v0 dst_sel:DWORD dst_unused:UNUSED_PAD src0_sel:DWORD src1_sel:WORD_1
	v_fmac_f16_e32 v7, v1, v0
	v_mul_f16_sdwa v1, v1, v0 dst_sel:DWORD dst_unused:UNUSED_PAD src0_sel:DWORD src1_sel:WORD_1
	v_fma_f16 v0, v125, v0, -v1
	v_lshrrev_b32_e32 v1, 16, v126
	v_add_co_u32 v125, vcc_lo, 0x3800, v198
	v_pack_b32_f16 v0, v0, v7
	v_mul_f16_sdwa v15, v1, v10 dst_sel:DWORD dst_unused:UNUSED_PAD src0_sel:DWORD src1_sel:WORD_1
	v_fmac_f16_e32 v85, v1, v10
	v_fma_f16 v15, v126, v10, -v15
	s_clause 0x1
	global_load_dword v1, v[81:82], off offset:1432
	global_load_dword v10, v[81:82], off offset:1628
	ds_read2_b32 v[134:135], v23 offset0:84 offset1:133
	v_add_co_ci_u32_e32 v126, vcc_lo, 0, v199, vcc_lo
	s_clause 0x4
	global_load_dword v87, v[81:82], off offset:1824
	global_load_dword v218, v[81:82], off offset:2020
	;; [unrolled: 1-line block ×5, first 2 shown]
	s_waitcnt lgkmcnt(0)
	v_lshrrev_b32_e32 v86, 16, v135
	s_waitcnt vmcnt(6)
	v_mul_f16_sdwa v123, v135, v1 dst_sel:DWORD dst_unused:UNUSED_PAD src0_sel:DWORD src1_sel:WORD_1
	v_fmac_f16_e32 v123, v86, v1
	v_mul_f16_sdwa v86, v86, v1 dst_sel:DWORD dst_unused:UNUSED_PAD src0_sel:DWORD src1_sel:WORD_1
	v_fma_f16 v1, v135, v1, -v86
	ds_read2_b32 v[135:136], v183 offset0:54 offset1:103
	v_pack_b32_f16 v1, v1, v123
	s_waitcnt lgkmcnt(0)
	v_lshrrev_b32_e32 v86, 16, v135
	s_waitcnt vmcnt(5)
	v_mul_f16_sdwa v129, v135, v10 dst_sel:DWORD dst_unused:UNUSED_PAD src0_sel:DWORD src1_sel:WORD_1
	v_fmac_f16_e32 v129, v86, v10
	v_mul_f16_sdwa v86, v86, v10 dst_sel:DWORD dst_unused:UNUSED_PAD src0_sel:DWORD src1_sel:WORD_1
	v_fma_f16 v10, v135, v10, -v86
	v_pack_b32_f16 v10, v10, v129
	ds_write2_b32 v183, v1, v10 offset0:5 offset1:54
	s_clause 0x7
	global_load_dword v1, v[125:126], off offset:756
	global_load_dword v10, v[125:126], off offset:952
	;; [unrolled: 1-line block ×8, first 2 shown]
	ds_read2_b32 v[125:126], v184 offset0:92 offset1:141
	s_waitcnt lgkmcnt(0)
	v_lshrrev_b32_e32 v123, 16, v125
	s_waitcnt vmcnt(7)
	v_mul_f16_sdwa v233, v125, v1 dst_sel:DWORD dst_unused:UNUSED_PAD src0_sel:DWORD src1_sel:WORD_1
	s_waitcnt vmcnt(6)
	v_mul_f16_sdwa v234, v126, v10 dst_sel:DWORD dst_unused:UNUSED_PAD src0_sel:DWORD src1_sel:WORD_1
	v_fmac_f16_e32 v233, v123, v1
	v_mul_f16_sdwa v123, v123, v1 dst_sel:DWORD dst_unused:UNUSED_PAD src0_sel:DWORD src1_sel:WORD_1
	v_fma_f16 v1, v125, v1, -v123
	v_lshrrev_b32_e32 v123, 16, v126
	v_mul_f16_sdwa v125, v123, v10 dst_sel:DWORD dst_unused:UNUSED_PAD src0_sel:DWORD src1_sel:WORD_1
	v_fmac_f16_e32 v234, v123, v10
	v_fma_f16 v131, v126, v10, -v125
	s_clause 0x4
	global_load_dword v10, v[127:128], off offset:80
	global_load_dword v123, v[127:128], off offset:276
	;; [unrolled: 1-line block ×5, first 2 shown]
	ds_read2_b32 v[125:126], v192 offset0:130 offset1:179
	ds_read2_b32 v[220:221], v22 offset0:100 offset1:149
	s_waitcnt lgkmcnt(1)
	v_lshrrev_b32_e32 v129, 16, v126
	s_waitcnt vmcnt(4)
	v_mul_f16_sdwa v224, v126, v10 dst_sel:DWORD dst_unused:UNUSED_PAD src0_sel:DWORD src1_sel:WORD_1
	v_fmac_f16_e32 v224, v129, v10
	v_mul_f16_sdwa v129, v129, v10 dst_sel:DWORD dst_unused:UNUSED_PAD src0_sel:DWORD src1_sel:WORD_1
	v_fma_f16 v10, v126, v10, -v129
	s_waitcnt lgkmcnt(0)
	v_lshrrev_b32_e32 v126, 16, v220
	s_waitcnt vmcnt(3)
	v_mul_f16_sdwa v129, v220, v123 dst_sel:DWORD dst_unused:UNUSED_PAD src0_sel:DWORD src1_sel:WORD_1
	v_pack_b32_f16 v10, v10, v224
	v_add_co_u32 v224, vcc_lo, 0x2800, v198
	v_fmac_f16_e32 v129, v126, v123
	v_mul_f16_sdwa v126, v126, v123 dst_sel:DWORD dst_unused:UNUSED_PAD src0_sel:DWORD src1_sel:WORD_1
	v_add_co_ci_u32_e32 v225, vcc_lo, 0, v199, vcc_lo
	v_add_co_u32 v198, vcc_lo, 0x4800, v198
	v_fma_f16 v123, v220, v123, -v126
	v_add_co_ci_u32_e32 v199, vcc_lo, 0, v199, vcc_lo
	v_pack_b32_f16 v123, v123, v129
	ds_write2_b32 v192, v10, v123 offset0:179 offset1:228
	s_clause 0x6
	global_load_dword v10, v[127:128], off offset:1648
	global_load_dword v220, v[127:128], off offset:1844
	;; [unrolled: 1-line block ×7, first 2 shown]
	v_lshrrev_b32_e32 v123, 16, v130
	ds_read2_b32 v[128:129], v184 offset0:190 offset1:239
	s_waitcnt vmcnt(6)
	v_mul_f16_sdwa v126, v123, v10 dst_sel:DWORD dst_unused:UNUSED_PAD src0_sel:DWORD src1_sel:WORD_1
	v_mul_f16_sdwa v242, v130, v10 dst_sel:DWORD dst_unused:UNUSED_PAD src0_sel:DWORD src1_sel:WORD_1
	v_fma_f16 v225, v130, v10, -v126
	ds_read2_b32 v[126:127], v132 offset0:98 offset1:147
	v_fmac_f16_e32 v242, v123, v10
	s_waitcnt lgkmcnt(0)
	v_lshrrev_b32_e32 v10, 16, v126
	v_mul_f16_sdwa v123, v126, v4 dst_sel:DWORD dst_unused:UNUSED_PAD src0_sel:DWORD src1_sel:WORD_1
	v_fmac_f16_e32 v123, v10, v4
	v_mul_f16_sdwa v10, v10, v4 dst_sel:DWORD dst_unused:UNUSED_PAD src0_sel:DWORD src1_sel:WORD_1
	v_fma_f16 v4, v126, v4, -v10
	v_pack_b32_f16 v10, v15, v85
	v_pack_b32_f16 v15, v131, v234
	ds_read2_b32 v[130:131], v182 offset0:108 offset1:157
	v_pack_b32_f16 v4, v4, v123
	ds_write2_b32 v132, v2, v4 offset0:49 offset1:98
	v_lshrrev_b32_e32 v2, 16, v124
	v_mul_f16_sdwa v4, v2, v3 dst_sel:DWORD dst_unused:UNUSED_PAD src0_sel:DWORD src1_sel:WORD_1
	v_fmac_f16_e32 v8, v2, v3
	v_fma_f16 v4, v124, v3, -v4
	ds_read2_b32 v[123:124], v186 offset0:16 offset1:65
	s_waitcnt vmcnt(5) lgkmcnt(2)
	v_mul_f16_sdwa v85, v130, v220 dst_sel:DWORD dst_unused:UNUSED_PAD src0_sel:DWORD src1_sel:WORD_1
	v_pack_b32_f16 v4, v4, v8
	s_waitcnt lgkmcnt(0)
	v_lshrrev_b32_e32 v2, 16, v123
	v_mul_f16_sdwa v3, v123, v11 dst_sel:DWORD dst_unused:UNUSED_PAD src0_sel:DWORD src1_sel:WORD_1
	v_fmac_f16_e32 v3, v2, v11
	v_mul_f16_sdwa v2, v2, v11 dst_sel:DWORD dst_unused:UNUSED_PAD src0_sel:DWORD src1_sel:WORD_1
	v_fma_f16 v2, v123, v11, -v2
	v_mul_f16_sdwa v11, v128, v86 dst_sel:DWORD dst_unused:UNUSED_PAD src0_sel:DWORD src1_sel:WORD_1
	v_pack_b32_f16 v2, v2, v3
	ds_write2_b32 v181, v10, v2 offset0:95 offset1:144
	v_lshrrev_b32_e32 v2, 16, v136
	v_mul_f16_sdwa v10, v136, v87 dst_sel:DWORD dst_unused:UNUSED_PAD src0_sel:DWORD src1_sel:WORD_1
	v_mov_b32_e32 v181, v185
	v_mul_f16_sdwa v3, v2, v87 dst_sel:DWORD dst_unused:UNUSED_PAD src0_sel:DWORD src1_sel:WORD_1
	v_fmac_f16_e32 v10, v2, v87
	v_lshrrev_b32_e32 v2, 16, v128
	v_fma_f16 v3, v136, v87, -v3
	v_fmac_f16_e32 v11, v2, v86
	v_mul_f16_sdwa v2, v2, v86 dst_sel:DWORD dst_unused:UNUSED_PAD src0_sel:DWORD src1_sel:WORD_1
	v_pack_b32_f16 v3, v3, v10
	v_fma_f16 v2, v128, v86, -v2
	v_pack_b32_f16 v86, v225, v242
	v_pack_b32_f16 v2, v2, v11
	ds_write2_b32 v184, v15, v2 offset0:141 offset1:190
	v_lshrrev_b32_e32 v2, 16, v221
	v_mul_f16_sdwa v15, v221, v235 dst_sel:DWORD dst_unused:UNUSED_PAD src0_sel:DWORD src1_sel:WORD_1
	v_mul_f16_sdwa v11, v2, v235 dst_sel:DWORD dst_unused:UNUSED_PAD src0_sel:DWORD src1_sel:WORD_1
	v_fmac_f16_e32 v15, v2, v235
	v_lshrrev_b32_e32 v2, 16, v130
	v_fma_f16 v11, v221, v235, -v11
	v_fmac_f16_e32 v85, v2, v220
	v_mul_f16_sdwa v2, v2, v220 dst_sel:DWORD dst_unused:UNUSED_PAD src0_sel:DWORD src1_sel:WORD_1
	v_pack_b32_f16 v11, v11, v15
	v_fma_f16 v2, v130, v220, -v2
	v_pack_b32_f16 v2, v2, v85
	ds_write2_b32 v182, v86, v2 offset0:59 offset1:108
	v_lshrrev_b32_e32 v2, 16, v127
	v_mul_f16_sdwa v86, v127, v5 dst_sel:DWORD dst_unused:UNUSED_PAD src0_sel:DWORD src1_sel:WORD_1
	v_mul_f16_sdwa v85, v2, v5 dst_sel:DWORD dst_unused:UNUSED_PAD src0_sel:DWORD src1_sel:WORD_1
	v_fmac_f16_e32 v86, v2, v5
	v_fma_f16 v85, v127, v5, -v85
	ds_read2_b32 v[126:127], v191 offset0:106 offset1:155
	s_waitcnt lgkmcnt(0)
	v_lshrrev_b32_e32 v2, 16, v126
	v_mul_f16_sdwa v5, v126, v14 dst_sel:DWORD dst_unused:UNUSED_PAD src0_sel:DWORD src1_sel:WORD_1
	v_fmac_f16_e32 v5, v2, v14
	v_mul_f16_sdwa v2, v2, v14 dst_sel:DWORD dst_unused:UNUSED_PAD src0_sel:DWORD src1_sel:WORD_1
	v_fma_f16 v2, v126, v14, -v2
	v_pack_b32_f16 v2, v2, v5
	v_mul_f16_sdwa v5, v124, v12 dst_sel:DWORD dst_unused:UNUSED_PAD src0_sel:DWORD src1_sel:WORD_1
	ds_write2_b32 v193, v4, v2 offset0:185 offset1:234
	v_lshrrev_b32_e32 v2, 16, v124
	v_mul_f16_sdwa v4, v2, v12 dst_sel:DWORD dst_unused:UNUSED_PAD src0_sel:DWORD src1_sel:WORD_1
	v_fmac_f16_e32 v5, v2, v12
	v_fma_f16 v4, v124, v12, -v4
	ds_read2_b32 v[123:124], v183 offset0:152 offset1:201
	s_waitcnt vmcnt(4)
	v_mul_f16_sdwa v12, v131, v238 dst_sel:DWORD dst_unused:UNUSED_PAD src0_sel:DWORD src1_sel:WORD_1
	v_pack_b32_f16 v4, v4, v5
	s_waitcnt lgkmcnt(0)
	v_lshrrev_b32_e32 v2, 16, v123
	v_mul_f16_sdwa v8, v123, v218 dst_sel:DWORD dst_unused:UNUSED_PAD src0_sel:DWORD src1_sel:WORD_1
	v_mul_f16_sdwa v5, v124, v226 dst_sel:DWORD dst_unused:UNUSED_PAD src0_sel:DWORD src1_sel:WORD_1
	v_fmac_f16_e32 v8, v2, v218
	v_mul_f16_sdwa v2, v2, v218 dst_sel:DWORD dst_unused:UNUSED_PAD src0_sel:DWORD src1_sel:WORD_1
	v_fma_f16 v2, v123, v218, -v2
	v_pack_b32_f16 v2, v2, v8
	v_mul_f16_sdwa v8, v129, v135 dst_sel:DWORD dst_unused:UNUSED_PAD src0_sel:DWORD src1_sel:WORD_1
	ds_write2_b32 v183, v3, v2 offset0:103 offset1:152
	v_lshrrev_b32_e32 v2, 16, v129
	v_mul_f16_sdwa v3, v2, v135 dst_sel:DWORD dst_unused:UNUSED_PAD src0_sel:DWORD src1_sel:WORD_1
	v_fmac_f16_e32 v8, v2, v135
	v_fma_f16 v3, v129, v135, -v3
	ds_read2_b32 v[128:129], v188 offset0:70 offset1:119
	v_pack_b32_f16 v3, v3, v8
	s_waitcnt lgkmcnt(0)
	v_lshrrev_b32_e32 v2, 16, v128
	v_mul_f16_sdwa v10, v128, v236 dst_sel:DWORD dst_unused:UNUSED_PAD src0_sel:DWORD src1_sel:WORD_1
	v_mul_f16_sdwa v8, v129, v237 dst_sel:DWORD dst_unused:UNUSED_PAD src0_sel:DWORD src1_sel:WORD_1
	v_fmac_f16_e32 v10, v2, v236
	v_mul_f16_sdwa v2, v2, v236 dst_sel:DWORD dst_unused:UNUSED_PAD src0_sel:DWORD src1_sel:WORD_1
	v_fma_f16 v2, v128, v236, -v2
	v_pack_b32_f16 v2, v2, v10
	ds_write2_b32 v188, v11, v2 offset0:21 offset1:70
	v_lshrrev_b32_e32 v2, 16, v80
	v_mul_f16_sdwa v11, v80, v6 dst_sel:DWORD dst_unused:UNUSED_PAD src0_sel:DWORD src1_sel:WORD_1
	v_mul_f16_sdwa v10, v2, v6 dst_sel:DWORD dst_unused:UNUSED_PAD src0_sel:DWORD src1_sel:WORD_1
	v_fmac_f16_e32 v11, v2, v6
	v_lshrrev_b32_e32 v2, 16, v131
	v_fma_f16 v10, v80, v6, -v10
	v_mul_f16_sdwa v6, v2, v238 dst_sel:DWORD dst_unused:UNUSED_PAD src0_sel:DWORD src1_sel:WORD_1
	v_fmac_f16_e32 v12, v2, v238
	v_pack_b32_f16 v2, v85, v86
	v_pack_b32_f16 v10, v10, v11
	s_waitcnt vmcnt(3)
	v_mul_f16_sdwa v11, v127, v239 dst_sel:DWORD dst_unused:UNUSED_PAD src0_sel:DWORD src1_sel:WORD_1
	v_fma_f16 v6, v131, v238, -v6
	ds_read2_b32 v[130:131], v187 offset0:76 offset1:125
	ds_write2_b32 v132, v2, v10 offset0:147 offset1:196
	v_lshrrev_b32_e32 v2, 16, v127
	v_pack_b32_f16 v6, v6, v12
	v_mul_f16_sdwa v10, v2, v239 dst_sel:DWORD dst_unused:UNUSED_PAD src0_sel:DWORD src1_sel:WORD_1
	v_fmac_f16_e32 v11, v2, v239
	v_fma_f16 v10, v127, v239, -v10
	ds_read2_b32 v[126:127], v186 offset0:114 offset1:163
	v_pack_b32_f16 v10, v10, v11
	s_waitcnt lgkmcnt(0)
	v_lshrrev_b32_e32 v2, 16, v126
	v_mul_f16_sdwa v14, v126, v13 dst_sel:DWORD dst_unused:UNUSED_PAD src0_sel:DWORD src1_sel:WORD_1
	v_fmac_f16_e32 v14, v2, v13
	v_mul_f16_sdwa v2, v2, v13 dst_sel:DWORD dst_unused:UNUSED_PAD src0_sel:DWORD src1_sel:WORD_1
	v_fma_f16 v2, v126, v13, -v2
	v_pack_b32_f16 v2, v2, v14
	ds_write2_b32 v186, v4, v2 offset0:65 offset1:114
	v_lshrrev_b32_e32 v2, 16, v124
	v_mul_f16_sdwa v4, v2, v226 dst_sel:DWORD dst_unused:UNUSED_PAD src0_sel:DWORD src1_sel:WORD_1
	v_fmac_f16_e32 v5, v2, v226
	v_fma_f16 v4, v124, v226, -v4
	ds_read2_b32 v[123:124], v192 offset0:32 offset1:81
	v_pack_b32_f16 v4, v4, v5
	v_mul_f16_sdwa v5, v133, v9 dst_sel:DWORD dst_unused:UNUSED_PAD src0_sel:DWORD src1_sel:WORD_1
	s_waitcnt lgkmcnt(0)
	v_lshrrev_b32_e32 v2, 16, v123
	v_mul_f16_sdwa v13, v123, v229 dst_sel:DWORD dst_unused:UNUSED_PAD src0_sel:DWORD src1_sel:WORD_1
	v_fmac_f16_e32 v13, v2, v229
	v_mul_f16_sdwa v2, v2, v229 dst_sel:DWORD dst_unused:UNUSED_PAD src0_sel:DWORD src1_sel:WORD_1
	v_fma_f16 v2, v123, v229, -v2
	v_pack_b32_f16 v2, v2, v13
	ds_write2_b32 v20, v3, v2 offset0:111 offset1:160
	v_lshrrev_b32_e32 v2, 16, v129
	v_mul_f16_sdwa v3, v2, v237 dst_sel:DWORD dst_unused:UNUSED_PAD src0_sel:DWORD src1_sel:WORD_1
	v_fmac_f16_e32 v8, v2, v237
	global_load_dword v2, v[198:199], off offset:188
	v_fma_f16 v3, v129, v237, -v3
	ds_read2_b32 v[128:129], v182 offset0:206 offset1:255
	s_waitcnt lgkmcnt(0)
	v_lshrrev_b32_e32 v13, 16, v128
	s_waitcnt vmcnt(0)
	v_mul_f16_sdwa v14, v128, v2 dst_sel:DWORD dst_unused:UNUSED_PAD src0_sel:DWORD src1_sel:WORD_1
	v_fmac_f16_e32 v14, v13, v2
	v_mul_f16_sdwa v13, v13, v2 dst_sel:DWORD dst_unused:UNUSED_PAD src0_sel:DWORD src1_sel:WORD_1
	v_fma_f16 v2, v128, v2, -v13
	v_pack_b32_f16 v2, v2, v14
	ds_write2_b32 v182, v6, v2 offset0:157 offset1:206
	v_lshrrev_b32_e32 v2, 16, v130
	v_mul_f16_sdwa v6, v130, v240 dst_sel:DWORD dst_unused:UNUSED_PAD src0_sel:DWORD src1_sel:WORD_1
	v_fmac_f16_e32 v6, v2, v240
	v_mul_f16_sdwa v2, v2, v240 dst_sel:DWORD dst_unused:UNUSED_PAD src0_sel:DWORD src1_sel:WORD_1
	v_fma_f16 v2, v130, v240, -v2
	v_pack_b32_f16 v2, v2, v6
	v_lshrrev_b32_e32 v6, 16, v127
	ds_write2_b32 v187, v10, v2 offset0:27 offset1:76
	global_load_dword v2, v[81:82], off offset:1040
	ds_read2_b32 v[80:81], v185 offset0:122 offset1:171
	v_mov_b32_e32 v185, v22
	s_waitcnt lgkmcnt(0)
	v_mul_f16_sdwa v7, v81, v232 dst_sel:DWORD dst_unused:UNUSED_PAD src0_sel:DWORD src1_sel:WORD_1
	s_waitcnt vmcnt(0)
	v_mul_f16_sdwa v10, v6, v2 dst_sel:DWORD dst_unused:UNUSED_PAD src0_sel:DWORD src1_sel:WORD_1
	v_mul_f16_sdwa v11, v127, v2 dst_sel:DWORD dst_unused:UNUSED_PAD src0_sel:DWORD src1_sel:WORD_1
	v_fma_f16 v10, v127, v2, -v10
	v_fmac_f16_e32 v11, v6, v2
	v_lshrrev_b32_e32 v2, 16, v80
	v_mul_f16_sdwa v6, v80, v227 dst_sel:DWORD dst_unused:UNUSED_PAD src0_sel:DWORD src1_sel:WORD_1
	v_fmac_f16_e32 v6, v2, v227
	v_mul_f16_sdwa v2, v2, v227 dst_sel:DWORD dst_unused:UNUSED_PAD src0_sel:DWORD src1_sel:WORD_1
	v_fma_f16 v2, v80, v227, -v2
	v_pack_b32_f16 v2, v2, v6
	ds_write2_b32 v183, v4, v2 offset0:201 offset1:250
	v_lshrrev_b32_e32 v2, 16, v133
	v_mul_f16_sdwa v4, v2, v9 dst_sel:DWORD dst_unused:UNUSED_PAD src0_sel:DWORD src1_sel:WORD_1
	v_fmac_f16_e32 v5, v2, v9
	v_lshrrev_b32_e32 v2, 16, v124
	v_fma_f16 v4, v133, v9, -v4
	v_mul_f16_sdwa v9, v124, v230 dst_sel:DWORD dst_unused:UNUSED_PAD src0_sel:DWORD src1_sel:WORD_1
	v_mul_f16_sdwa v6, v2, v230 dst_sel:DWORD dst_unused:UNUSED_PAD src0_sel:DWORD src1_sel:WORD_1
	v_fmac_f16_e32 v9, v2, v230
	v_pack_b32_f16 v2, v3, v8
	v_pack_b32_f16 v3, v4, v5
	v_mul_f16_sdwa v4, v131, v224 dst_sel:DWORD dst_unused:UNUSED_PAD src0_sel:DWORD src1_sel:WORD_1
	v_mul_f16_sdwa v8, v129, v241 dst_sel:DWORD dst_unused:UNUSED_PAD src0_sel:DWORD src1_sel:WORD_1
	v_fma_f16 v6, v124, v230, -v6
	ds_write2_b32 v188, v2, v3 offset0:119 offset1:168
	v_lshrrev_b32_e32 v2, 16, v131
	v_mul_f16_sdwa v3, v2, v224 dst_sel:DWORD dst_unused:UNUSED_PAD src0_sel:DWORD src1_sel:WORD_1
	v_fmac_f16_e32 v4, v2, v224
	v_lshrrev_b32_e32 v2, 16, v129
	v_fma_f16 v3, v131, v224, -v3
	v_mul_f16_sdwa v5, v2, v241 dst_sel:DWORD dst_unused:UNUSED_PAD src0_sel:DWORD src1_sel:WORD_1
	v_fmac_f16_e32 v8, v2, v241
	v_pack_b32_f16 v2, v3, v4
	v_mul_f16_sdwa v3, v134, v228 dst_sel:DWORD dst_unused:UNUSED_PAD src0_sel:DWORD src1_sel:WORD_1
	v_fma_f16 v5, v129, v241, -v5
	ds_write2_b32 v187, v2, v0 offset0:125 offset1:174
	v_lshrrev_b32_e32 v0, 16, v134
	v_mul_f16_sdwa v2, v0, v228 dst_sel:DWORD dst_unused:UNUSED_PAD src0_sel:DWORD src1_sel:WORD_1
	v_fmac_f16_e32 v3, v0, v228
	v_lshrrev_b32_e32 v0, 16, v81
	v_fma_f16 v2, v134, v228, -v2
	v_mul_f16_sdwa v4, v0, v232 dst_sel:DWORD dst_unused:UNUSED_PAD src0_sel:DWORD src1_sel:WORD_1
	v_fmac_f16_e32 v7, v0, v232
	v_pack_b32_f16 v0, v10, v11
	v_pack_b32_f16 v2, v2, v3
	ds_read_b32 v3, v132 offset:9408
	v_fma_f16 v4, v81, v232, -v4
	ds_write2_b32 v186, v0, v2 offset0:163 offset1:212
	v_pack_b32_f16 v0, v1, v233
	v_pack_b32_f16 v1, v4, v7
	v_mul_f16_sdwa v2, v125, v231 dst_sel:DWORD dst_unused:UNUSED_PAD src0_sel:DWORD src1_sel:WORD_1
	ds_write2_b32 v184, v1, v0 offset0:43 offset1:92
	v_lshrrev_b32_e32 v0, 16, v125
	v_mul_f16_sdwa v1, v0, v231 dst_sel:DWORD dst_unused:UNUSED_PAD src0_sel:DWORD src1_sel:WORD_1
	v_fmac_f16_e32 v2, v0, v231
	global_load_dword v0, v[198:199], off offset:580
	s_waitcnt lgkmcnt(2)
	v_lshrrev_b32_e32 v4, 16, v3
	v_fma_f16 v1, v125, v231, -v1
	v_pack_b32_f16 v1, v1, v2
	s_waitcnt vmcnt(0)
	v_mul_f16_sdwa v7, v4, v0 dst_sel:DWORD dst_unused:UNUSED_PAD src0_sel:DWORD src1_sel:WORD_1
	v_fma_f16 v7, v3, v0, -v7
	v_mul_f16_sdwa v3, v3, v0 dst_sel:DWORD dst_unused:UNUSED_PAD src0_sel:DWORD src1_sel:WORD_1
	v_fmac_f16_e32 v3, v4, v0
	v_pack_b32_f16 v0, v6, v9
	ds_write2_b32 v192, v0, v1 offset0:81 offset1:130
	v_pack_b32_f16 v0, v5, v8
	v_pack_b32_f16 v1, v7, v3
	ds_write2_b32 v21, v0, v1 offset0:127 offset1:176
	s_waitcnt lgkmcnt(0)
	s_barrier
	buffer_gl0_inv
	ds_read2_b32 v[126:127], v187 offset0:174 offset1:223
	ds_read2_b32 v[81:82], v192 offset0:130 offset1:179
	;; [unrolled: 1-line block ×5, first 2 shown]
	s_waitcnt lgkmcnt(3)
	v_add_f16_e32 v243, v126, v82
	v_add_f16_sdwa v242, v126, v82 dst_sel:DWORD dst_unused:UNUSED_PAD src0_sel:WORD_1 src1_sel:WORD_1
	v_sub_f16_e32 v241, v126, v82
	v_sub_f16_sdwa v240, v126, v82 dst_sel:DWORD dst_unused:UNUSED_PAD src0_sel:WORD_1 src1_sel:WORD_1
	s_waitcnt lgkmcnt(2)
	v_add_f16_e32 v126, v127, v130
	v_add_f16_sdwa v125, v127, v130 dst_sel:DWORD dst_unused:UNUSED_PAD src0_sel:WORD_1 src1_sel:WORD_1
	v_sub_f16_e32 v124, v127, v130
	v_sub_f16_sdwa v123, v127, v130 dst_sel:DWORD dst_unused:UNUSED_PAD src0_sel:WORD_1 src1_sel:WORD_1
	;; [unrolled: 5-line block ×4, first 2 shown]
	ds_read2_b32 v[133:134], v186 offset0:114 offset1:163
	s_waitcnt lgkmcnt(0)
	v_add_f16_e32 v231, v133, v136
	v_add_f16_sdwa v230, v133, v136 dst_sel:DWORD dst_unused:UNUSED_PAD src0_sel:WORD_1 src1_sel:WORD_1
	v_sub_f16_e32 v229, v133, v136
	v_sub_f16_sdwa v228, v133, v136 dst_sel:DWORD dst_unused:UNUSED_PAD src0_sel:WORD_1 src1_sel:WORD_1
	ds_read2_b32 v[135:136], v188 offset0:168 offset1:217
	s_waitcnt lgkmcnt(0)
	v_add_f16_e32 v235, v134, v135
	v_add_f16_sdwa v234, v134, v135 dst_sel:DWORD dst_unused:UNUSED_PAD src0_sel:WORD_1 src1_sel:WORD_1
	v_sub_f16_e32 v233, v134, v135
	v_sub_f16_sdwa v232, v134, v135 dst_sel:DWORD dst_unused:UNUSED_PAD src0_sel:WORD_1 src1_sel:WORD_1
	;; [unrolled: 6-line block ×4, first 2 shown]
	ds_read2_b32 v[133:134], v183 offset0:54 offset1:103
	v_sub_f16_e32 v8, v0, v243
	v_sub_f16_e32 v39, v1, v242
	s_waitcnt lgkmcnt(0)
	v_add_f16_e32 v10, v133, v136
	v_add_f16_sdwa v11, v133, v136 dst_sel:DWORD dst_unused:UNUSED_PAD src0_sel:WORD_1 src1_sel:WORD_1
	v_sub_f16_e32 v12, v136, v133
	v_sub_f16_sdwa v13, v136, v133 dst_sel:DWORD dst_unused:UNUSED_PAD src0_sel:WORD_1 src1_sel:WORD_1
	ds_read2_b32 v[135:136], v184 offset0:190 offset1:239
	s_waitcnt lgkmcnt(0)
	v_add_f16_e32 v20, v134, v135
	v_add_f16_sdwa v21, v134, v135 dst_sel:DWORD dst_unused:UNUSED_PAD src0_sel:WORD_1 src1_sel:WORD_1
	v_sub_f16_e32 v22, v135, v134
	v_sub_f16_sdwa v23, v135, v134 dst_sel:DWORD dst_unused:UNUSED_PAD src0_sel:WORD_1 src1_sel:WORD_1
	ds_read2_b32 v[133:134], v183 offset0:152 offset1:201
	;; [unrolled: 6-line block ×4, first 2 shown]
	s_waitcnt lgkmcnt(0)
	v_add_f16_e32 v245, v134, v136
	v_add_f16_sdwa v244, v134, v136 dst_sel:DWORD dst_unused:UNUSED_PAD src0_sel:WORD_1 src1_sel:WORD_1
	v_sub_f16_e32 v226, v136, v134
	v_sub_f16_sdwa v136, v136, v134 dst_sel:DWORD dst_unused:UNUSED_PAD src0_sel:WORD_1 src1_sel:WORD_1
	v_add_f16_e32 v134, v135, v81
	v_add_f16_sdwa v224, v135, v81 dst_sel:DWORD dst_unused:UNUSED_PAD src0_sel:WORD_1 src1_sel:WORD_1
	v_sub_f16_e32 v221, v81, v135
	v_sub_f16_sdwa v45, v81, v135 dst_sel:DWORD dst_unused:UNUSED_PAD src0_sel:WORD_1 src1_sel:WORD_1
	ds_read_b32 v220, v132 offset:9408
	ds_read2_b32 v[81:82], v187 offset0:76 offset1:125
	ds_read2_b32 v[250:251], v182 offset0:206 offset1:255
	s_waitcnt lgkmcnt(1)
	v_add_f16_e32 v225, v82, v220
	v_add_f16_sdwa v135, v82, v220 dst_sel:DWORD dst_unused:UNUSED_PAD src0_sel:WORD_1 src1_sel:WORD_1
	v_sub_f16_e32 v133, v82, v220
	v_sub_f16_sdwa v220, v82, v220 dst_sel:DWORD dst_unused:UNUSED_PAD src0_sel:WORD_1 src1_sel:WORD_1
	s_waitcnt lgkmcnt(0)
	v_add_f16_e32 v249, v81, v251
	v_add_f16_sdwa v248, v81, v251 dst_sel:DWORD dst_unused:UNUSED_PAD src0_sel:WORD_1 src1_sel:WORD_1
	v_sub_f16_e32 v247, v81, v251
	v_sub_f16_sdwa v246, v81, v251 dst_sel:DWORD dst_unused:UNUSED_PAD src0_sel:WORD_1 src1_sel:WORD_1
	ds_read2_b32 v[81:82], v191 offset0:106 offset1:155
	s_waitcnt lgkmcnt(0)
	v_add_f16_e32 v80, v82, v250
	v_add_f16_sdwa v83, v82, v250 dst_sel:DWORD dst_unused:UNUSED_PAD src0_sel:WORD_1 src1_sel:WORD_1
	v_sub_f16_e32 v85, v82, v250
	v_sub_f16_sdwa v86, v82, v250 dst_sel:DWORD dst_unused:UNUSED_PAD src0_sel:WORD_1 src1_sel:WORD_1
	ds_read2_b32 v[250:251], v182 offset0:108 offset1:157
	;; [unrolled: 6-line block ×5, first 2 shown]
	s_waitcnt lgkmcnt(0)
	v_add_f16_sdwa v34, v82, v250 dst_sel:DWORD dst_unused:UNUSED_PAD src0_sel:WORD_1 src1_sel:WORD_1
	v_add_f16_e32 v33, v82, v250
	v_sub_f16_e32 v35, v82, v250
	v_sub_f16_sdwa v82, v82, v250 dst_sel:DWORD dst_unused:UNUSED_PAD src0_sel:WORD_1 src1_sel:WORD_1
	v_add_f16_e32 v37, v242, v34
	v_sub_f16_e32 v38, v242, v34
	v_sub_f16_e32 v34, v34, v1
	v_sub_f16_e32 v242, v2, v241
	v_sub_f16_e32 v251, v35, v2
	v_add_f16_e32 v1, v1, v37
	v_add_f16_e32 v37, v2, v241
	v_sub_f16_e32 v6, v241, v35
	v_sub_f16_e32 v2, v3, v240
	;; [unrolled: 1-line block ×3, first 2 shown]
	v_add_f16_e32 v250, v243, v33
	v_add_f16_e32 v35, v37, v35
	;; [unrolled: 1-line block ×3, first 2 shown]
	ds_read2_b32 v[240:241], v132 offset1:49
	v_sub_f16_e32 v9, v243, v33
	v_sub_f16_e32 v33, v33, v0
	v_add_f16_e32 v0, v0, v250
	v_mul_f16_e32 v4, 0x3846, v242
	v_sub_f16_e32 v3, v82, v3
	v_add_f16_e32 v37, v37, v82
	v_mul_f16_e32 v250, 0x3a52, v33
	v_mul_f16_e32 v2, 0x3846, v2
	;; [unrolled: 1-line block ×3, first 2 shown]
	v_fmamk_f16 v242, v8, 0x2b26, v250
	v_mul_f16_e32 v8, 0x2b26, v8
	v_fma_f16 v243, v9, 0xb9e0, -v250
	v_fmac_f16_e32 v33, 0x3574, v251
	v_fma_f16 v8, v9, 0x39e0, -v8
	v_mul_f16_e32 v9, 0x2b26, v39
	s_waitcnt lgkmcnt(0)
	v_add_f16_sdwa v43, v1, v240 dst_sel:DWORD dst_unused:UNUSED_PAD src0_sel:DWORD src1_sel:WORD_1
	v_add_f16_e32 v82, v0, v240
	v_fmac_f16_e32 v33, 0xb70e, v35
	v_fma_f16 v9, v38, 0x39e0, -v9
	v_lshlrev_b32_e32 v240, 16, v43
	v_fmac_f16_e32 v43, 0xbcab, v1
	v_mul_f16_e32 v1, 0x3a52, v34
	v_mul_f16_e32 v34, 0x3b00, v42
	v_or_b32_sdwa v240, v240, v82 dst_sel:DWORD dst_unused:UNUSED_PAD src0_sel:DWORD src1_sel:WORD_0
	v_fmac_f16_e32 v82, 0xbcab, v0
	v_fmamk_f16 v0, v251, 0xb574, v4
	v_fmac_f16_e32 v34, 0x3574, v3
	v_fmamk_f16 v3, v3, 0xb574, v2
	v_fma_f16 v2, v42, 0xbb00, -v2
	v_fma_f16 v4, v6, 0xbb00, -v4
	v_add_f16_e32 v41, v243, v82
	v_fma_f16 v243, v38, 0xb9e0, -v1
	v_fmamk_f16 v1, v39, 0x2b26, v1
	v_add_f16_e32 v6, v8, v82
	v_fmac_f16_e32 v2, 0xb70e, v37
	v_add_f16_e32 v8, v9, v43
	v_fmac_f16_e32 v4, 0xb70e, v35
	;; [unrolled: 2-line block ×3, first 2 shown]
	v_add_f16_e32 v46, v242, v82
	v_add_f16_e32 v1, v1, v43
	v_fmac_f16_e32 v3, 0xb70e, v37
	v_fmac_f16_e32 v0, 0xb70e, v35
	v_sub_f16_e32 v9, v6, v2
	v_add_f16_e32 v2, v2, v6
	v_sub_f16_e32 v6, v8, v4
	v_add_f16_e32 v4, v4, v8
	v_add_f16_e32 v94, v34, v41
	v_sub_f16_e32 v243, v5, v33
	v_add_f16_e32 v47, v46, v3
	v_sub_f16_e32 v242, v1, v0
	v_pack_b32_f16 v2, v2, v6
	v_pack_b32_f16 v4, v9, v4
	;; [unrolled: 1-line block ×3, first 2 shown]
	v_sub_f16_e32 v3, v46, v3
	v_pack_b32_f16 v47, v47, v242
	ds_read2_b32 v[242:243], v132 offset0:98 offset1:147
	ds_read2_b32 v[250:251], v132 offset0:196 offset1:245
	s_waitcnt lgkmcnt(0)
	s_barrier
	buffer_gl0_inv
	ds_write2_b32 v200, v4, v2 offset0:3 offset1:4
	v_sub_f16_e32 v2, v41, v34
	v_add_f16_e32 v0, v0, v1
	v_add_f16_e32 v1, v33, v5
	;; [unrolled: 1-line block ×3, first 2 shown]
	ds_write2_b32 v200, v47, v94 offset0:1 offset1:2
	v_add_f16_e32 v9, v12, v124
	v_pack_b32_f16 v0, v3, v0
	v_pack_b32_f16 v1, v2, v1
	ds_write2_b32 v200, v1, v0 offset0:5 offset1:6
	ds_write_b32 v200, v240
	v_add_f16_e32 v0, v126, v29
	v_sub_f16_e32 v1, v126, v29
	v_sub_f16_e32 v2, v29, v10
	v_add_f16_e32 v4, v11, v4
	v_add_f16_e32 v29, v13, v123
	v_sub_f16_e32 v3, v10, v126
	v_add_f16_e32 v0, v10, v0
	v_sub_f16_e32 v5, v125, v30
	v_sub_f16_e32 v6, v30, v11
	;; [unrolled: 1-line block ×6, first 2 shown]
	v_add_f16_e32 v9, v9, v31
	v_sub_f16_e32 v30, v13, v123
	v_sub_f16_e32 v13, v7, v13
	;; [unrolled: 1-line block ×3, first 2 shown]
	v_add_f16_e32 v7, v29, v7
	v_add_f16_sdwa v29, v4, v241 dst_sel:DWORD dst_unused:UNUSED_PAD src0_sel:DWORD src1_sel:WORD_1
	v_add_f16_e32 v33, v0, v241
	v_mul_f16_e32 v30, 0x3846, v30
	v_mul_f16_e32 v10, 0x3846, v10
	v_lshlrev_b32_e32 v34, 16, v29
	v_fmac_f16_e32 v29, 0xbcab, v4
	v_mul_f16_e32 v4, 0x3b00, v12
	v_or_b32_sdwa v34, v34, v33 dst_sel:DWORD dst_unused:UNUSED_PAD src0_sel:DWORD src1_sel:WORD_0
	v_fmac_f16_e32 v33, 0xbcab, v0
	v_mul_f16_e32 v0, 0x3a52, v2
	v_mul_f16_e32 v2, 0x3a52, v6
	;; [unrolled: 1-line block ×3, first 2 shown]
	v_fmac_f16_e32 v4, 0x3574, v11
	v_fmamk_f16 v11, v11, 0xb574, v10
	v_fma_f16 v35, v1, 0xb9e0, -v0
	v_fma_f16 v37, v5, 0xb9e0, -v2
	v_fmamk_f16 v0, v3, 0x2b26, v0
	v_fmamk_f16 v2, v8, 0x2b26, v2
	v_mul_f16_e32 v3, 0x2b26, v3
	v_mul_f16_e32 v8, 0x2b26, v8
	v_fmac_f16_e32 v6, 0x3574, v13
	v_fmamk_f16 v13, v13, 0xb574, v30
	v_add_f16_e32 v35, v35, v33
	v_fma_f16 v1, v1, 0x39e0, -v3
	v_fma_f16 v3, v31, 0xbb00, -v30
	;; [unrolled: 1-line block ×4, first 2 shown]
	v_add_f16_e32 v37, v37, v29
	v_add_f16_e32 v1, v1, v33
	v_fmac_f16_e32 v3, 0xb70e, v7
	v_add_f16_e32 v5, v5, v29
	v_fmac_f16_e32 v8, 0xb70e, v9
	v_fmac_f16_e32 v6, 0xb70e, v7
	;; [unrolled: 1-line block ×4, first 2 shown]
	v_sub_f16_e32 v7, v1, v3
	v_add_f16_e32 v1, v3, v1
	v_sub_f16_e32 v3, v5, v8
	v_add_f16_e32 v5, v8, v5
	v_add_f16_e32 v38, v6, v35
	v_sub_f16_e32 v39, v37, v4
	v_add_f16_e32 v0, v0, v33
	v_add_f16_e32 v2, v2, v29
	v_fmac_f16_e32 v11, 0xb70e, v9
	v_pack_b32_f16 v1, v1, v3
	v_pack_b32_f16 v3, v7, v5
	;; [unrolled: 1-line block ×3, first 2 shown]
	v_add_f16_e32 v39, v0, v13
	v_sub_f16_e32 v41, v2, v11
	v_sub_f16_e32 v0, v0, v13
	ds_write2_b32 v201, v3, v1 offset0:3 offset1:4
	v_sub_f16_e32 v1, v35, v6
	v_add_f16_e32 v2, v11, v2
	v_add_f16_e32 v3, v4, v37
	v_pack_b32_f16 v39, v39, v41
	v_add_f16_e32 v4, v129, v27
	v_add_f16_e32 v8, v22, v128
	v_pack_b32_f16 v0, v0, v2
	v_pack_b32_f16 v1, v1, v3
	ds_write2_b32 v201, v39, v38 offset0:1 offset1:2
	ds_write2_b32 v201, v1, v0 offset0:5 offset1:6
	ds_write_b32 v201, v34
	v_add_f16_e32 v0, v130, v26
	v_add_f16_e32 v4, v21, v4
	;; [unrolled: 1-line block ×3, first 2 shown]
	v_sub_f16_e32 v2, v26, v20
	v_sub_f16_e32 v3, v20, v130
	v_add_f16_e32 v0, v20, v0
	v_sub_f16_e32 v10, v14, v22
	v_sub_f16_e32 v11, v128, v14
	v_add_f16_e32 v8, v8, v14
	;; [unrolled: 3-line block ×3, first 2 shown]
	v_add_f16_sdwa v15, v4, v242 dst_sel:DWORD dst_unused:UNUSED_PAD src0_sel:DWORD src1_sel:WORD_1
	v_sub_f16_e32 v6, v27, v21
	v_sub_f16_e32 v7, v21, v129
	;; [unrolled: 1-line block ×3, first 2 shown]
	v_add_f16_e32 v21, v0, v242
	v_lshlrev_b32_e32 v22, 16, v15
	v_sub_f16_e32 v1, v130, v26
	v_sub_f16_e32 v5, v129, v27
	;; [unrolled: 1-line block ×3, first 2 shown]
	v_mul_f16_e32 v9, 0x3846, v9
	v_or_b32_sdwa v22, v22, v21 dst_sel:DWORD dst_unused:UNUSED_PAD src0_sel:DWORD src1_sel:WORD_0
	v_fmac_f16_e32 v21, 0xbcab, v0
	v_mul_f16_e32 v0, 0x3a52, v2
	v_mul_f16_e32 v2, 0x3a52, v6
	;; [unrolled: 1-line block ×3, first 2 shown]
	v_fmac_f16_e32 v15, 0xbcab, v4
	v_mul_f16_e32 v4, 0x3b00, v11
	v_fma_f16 v23, v1, 0xb9e0, -v0
	v_fma_f16 v26, v5, 0xb9e0, -v2
	v_fmamk_f16 v0, v3, 0x2b26, v0
	v_fmamk_f16 v2, v7, 0x2b26, v2
	v_mul_f16_e32 v3, 0x2b26, v3
	v_mul_f16_e32 v7, 0x2b26, v7
	;; [unrolled: 1-line block ×3, first 2 shown]
	v_fmac_f16_e32 v4, 0x3574, v10
	v_fmamk_f16 v10, v10, 0xb574, v9
	v_fma_f16 v1, v1, 0x39e0, -v3
	v_fma_f16 v3, v20, 0xbb00, -v13
	;; [unrolled: 1-line block ×4, first 2 shown]
	v_fmac_f16_e32 v6, 0x3574, v14
	v_add_f16_e32 v1, v1, v21
	v_fmac_f16_e32 v3, 0xb70e, v12
	v_add_f16_e32 v5, v5, v15
	;; [unrolled: 2-line block ×3, first 2 shown]
	v_add_f16_e32 v26, v26, v15
	v_fmac_f16_e32 v6, 0xb70e, v12
	v_fmac_f16_e32 v4, 0xb70e, v8
	v_fmamk_f16 v14, v14, 0xb574, v13
	v_fmac_f16_e32 v10, 0xb70e, v8
	v_sub_f16_e32 v8, v1, v3
	v_add_f16_e32 v1, v3, v1
	v_sub_f16_e32 v3, v5, v7
	v_add_f16_e32 v5, v7, v5
	v_add_f16_e32 v27, v6, v23
	v_sub_f16_e32 v29, v26, v4
	v_add_f16_e32 v0, v0, v21
	v_add_f16_e32 v2, v2, v15
	v_fmac_f16_e32 v14, 0xb70e, v12
	v_pack_b32_f16 v1, v1, v3
	v_pack_b32_f16 v3, v8, v5
	;; [unrolled: 1-line block ×3, first 2 shown]
	v_sub_f16_e32 v30, v2, v10
	v_add_f16_e32 v29, v0, v14
	v_sub_f16_e32 v0, v0, v14
	ds_write2_b32 v202, v3, v1 offset0:3 offset1:4
	v_sub_f16_e32 v1, v23, v6
	v_add_f16_e32 v2, v10, v2
	v_add_f16_e32 v3, v4, v26
	v_pack_b32_f16 v29, v29, v30
	v_add_f16_e32 v4, v199, v84
	v_sub_f16_e32 v6, v84, v36
	v_pack_b32_f16 v0, v0, v2
	v_pack_b32_f16 v1, v1, v3
	ds_write2_b32 v202, v29, v27 offset0:1 offset1:2
	ds_write2_b32 v202, v1, v0 offset0:5 offset1:6
	ds_write_b32 v202, v22
	v_add_f16_e32 v0, v227, v24
	v_add_f16_e32 v4, v36, v4
	v_sub_f16_e32 v2, v24, v32
	v_sub_f16_e32 v1, v227, v24
	;; [unrolled: 1-line block ×3, first 2 shown]
	v_add_f16_e32 v0, v32, v0
	v_add_f16_sdwa v20, v4, v243 dst_sel:DWORD dst_unused:UNUSED_PAD src0_sel:DWORD src1_sel:WORD_1
	v_sub_f16_e32 v5, v199, v84
	v_sub_f16_e32 v7, v36, v199
	;; [unrolled: 1-line block ×3, first 2 shown]
	v_add_f16_e32 v21, v0, v243
	v_lshlrev_b32_e32 v22, 16, v20
	v_sub_f16_e32 v13, v44, v131
	v_add_f16_e32 v8, v40, v198
	v_sub_f16_e32 v11, v198, v25
	v_add_f16_e32 v12, v44, v131
	v_or_b32_sdwa v22, v22, v21 dst_sel:DWORD dst_unused:UNUSED_PAD src0_sel:DWORD src1_sel:WORD_0
	v_fmac_f16_e32 v21, 0xbcab, v0
	v_mul_f16_e32 v0, 0x3a52, v2
	v_mul_f16_e32 v2, 0x3a52, v6
	v_sub_f16_e32 v15, v131, v28
	v_mul_f16_e32 v13, 0x3846, v13
	v_mul_f16_e32 v9, 0x3846, v9
	v_fma_f16 v23, v1, 0xb9e0, -v0
	v_fma_f16 v24, v5, 0xb9e0, -v2
	v_fmamk_f16 v0, v3, 0x2b26, v0
	v_fmamk_f16 v2, v7, 0x2b26, v2
	v_mul_f16_e32 v3, 0x2b26, v3
	v_mul_f16_e32 v7, 0x2b26, v7
	v_sub_f16_e32 v10, v25, v40
	v_add_f16_e32 v8, v8, v25
	v_sub_f16_e32 v14, v28, v44
	v_add_f16_e32 v12, v12, v28
	v_fmac_f16_e32 v20, 0xbcab, v4
	v_mul_f16_e32 v4, 0x3b00, v11
	v_mul_f16_e32 v6, 0x3b00, v15
	v_fma_f16 v1, v1, 0x39e0, -v3
	v_fma_f16 v3, v15, 0xbb00, -v13
	;; [unrolled: 1-line block ×4, first 2 shown]
	v_fmac_f16_e32 v4, 0x3574, v10
	v_fmac_f16_e32 v6, 0x3574, v14
	v_fmamk_f16 v10, v10, 0xb574, v9
	v_add_f16_e32 v1, v1, v21
	v_fmac_f16_e32 v3, 0xb70e, v12
	v_add_f16_e32 v5, v5, v20
	v_fmac_f16_e32 v7, 0xb70e, v8
	v_add_f16_e32 v23, v23, v21
	v_add_f16_e32 v24, v24, v20
	v_fmac_f16_e32 v6, 0xb70e, v12
	v_fmac_f16_e32 v4, 0xb70e, v8
	v_fmamk_f16 v14, v14, 0xb574, v13
	v_fmac_f16_e32 v10, 0xb70e, v8
	v_sub_f16_e32 v8, v1, v3
	v_add_f16_e32 v1, v3, v1
	v_sub_f16_e32 v3, v5, v7
	v_add_f16_e32 v5, v7, v5
	v_add_f16_e32 v25, v6, v23
	v_sub_f16_e32 v26, v24, v4
	v_add_f16_e32 v0, v0, v21
	v_add_f16_e32 v2, v2, v20
	v_fmac_f16_e32 v14, 0xb70e, v12
	v_pack_b32_f16 v1, v1, v3
	v_pack_b32_f16 v3, v8, v5
	;; [unrolled: 1-line block ×3, first 2 shown]
	v_sub_f16_e32 v27, v2, v10
	v_add_f16_e32 v26, v0, v14
	v_sub_f16_e32 v0, v0, v14
	ds_write2_b32 v206, v3, v1 offset0:3 offset1:4
	v_sub_f16_e32 v1, v23, v6
	v_add_f16_e32 v2, v10, v2
	v_add_f16_e32 v3, v4, v24
	v_pack_b32_f16 v26, v26, v27
	v_add_f16_e32 v4, v230, v83
	v_sub_f16_e32 v6, v83, v88
	v_pack_b32_f16 v0, v0, v2
	v_pack_b32_f16 v1, v1, v3
	ds_write2_b32 v206, v26, v25 offset0:1 offset1:2
	ds_write2_b32 v206, v1, v0 offset0:5 offset1:6
	ds_write_b32 v206, v22
	v_add_f16_e32 v0, v231, v80
	v_add_f16_e32 v4, v88, v4
	v_sub_f16_e32 v2, v80, v87
	v_sub_f16_e32 v1, v231, v80
	;; [unrolled: 1-line block ×3, first 2 shown]
	v_add_f16_e32 v0, v87, v0
	v_add_f16_sdwa v20, v4, v250 dst_sel:DWORD dst_unused:UNUSED_PAD src0_sel:DWORD src1_sel:WORD_1
	v_sub_f16_e32 v5, v230, v83
	v_sub_f16_e32 v7, v88, v230
	;; [unrolled: 1-line block ×3, first 2 shown]
	v_add_f16_e32 v21, v0, v250
	v_lshlrev_b32_e32 v22, 16, v20
	v_sub_f16_e32 v13, v218, v228
	v_add_f16_e32 v8, v93, v229
	v_sub_f16_e32 v11, v229, v85
	v_add_f16_e32 v12, v218, v228
	v_or_b32_sdwa v22, v22, v21 dst_sel:DWORD dst_unused:UNUSED_PAD src0_sel:DWORD src1_sel:WORD_0
	v_fmac_f16_e32 v21, 0xbcab, v0
	v_mul_f16_e32 v0, 0x3a52, v2
	v_mul_f16_e32 v2, 0x3a52, v6
	v_sub_f16_e32 v15, v228, v86
	v_mul_f16_e32 v13, 0x3846, v13
	v_mul_f16_e32 v9, 0x3846, v9
	v_fma_f16 v23, v1, 0xb9e0, -v0
	v_fma_f16 v24, v5, 0xb9e0, -v2
	v_fmamk_f16 v0, v3, 0x2b26, v0
	v_fmamk_f16 v2, v7, 0x2b26, v2
	v_mul_f16_e32 v3, 0x2b26, v3
	v_mul_f16_e32 v7, 0x2b26, v7
	v_sub_f16_e32 v10, v85, v93
	v_add_f16_e32 v8, v8, v85
	v_sub_f16_e32 v14, v86, v218
	v_add_f16_e32 v12, v12, v86
	v_fmac_f16_e32 v20, 0xbcab, v4
	v_mul_f16_e32 v4, 0x3b00, v11
	v_mul_f16_e32 v6, 0x3b00, v15
	v_fma_f16 v1, v1, 0x39e0, -v3
	v_fma_f16 v3, v15, 0xbb00, -v13
	v_fma_f16 v5, v5, 0x39e0, -v7
	v_fma_f16 v7, v11, 0xbb00, -v9
	v_fmac_f16_e32 v4, 0x3574, v10
	v_fmac_f16_e32 v6, 0x3574, v14
	v_fmamk_f16 v10, v10, 0xb574, v9
	v_add_f16_e32 v1, v1, v21
	v_fmac_f16_e32 v3, 0xb70e, v12
	v_add_f16_e32 v5, v5, v20
	v_fmac_f16_e32 v7, 0xb70e, v8
	v_add_f16_e32 v23, v23, v21
	v_add_f16_e32 v24, v24, v20
	v_fmac_f16_e32 v6, 0xb70e, v12
	v_fmac_f16_e32 v4, 0xb70e, v8
	v_fmamk_f16 v14, v14, 0xb574, v13
	v_fmac_f16_e32 v10, 0xb70e, v8
	v_sub_f16_e32 v8, v1, v3
	v_add_f16_e32 v1, v3, v1
	v_sub_f16_e32 v3, v5, v7
	v_add_f16_e32 v5, v7, v5
	v_add_f16_e32 v25, v6, v23
	v_sub_f16_e32 v26, v24, v4
	v_add_f16_e32 v0, v0, v21
	v_add_f16_e32 v2, v2, v20
	v_fmac_f16_e32 v14, 0xb70e, v12
	v_pack_b32_f16 v1, v1, v3
	v_pack_b32_f16 v3, v8, v5
	;; [unrolled: 1-line block ×3, first 2 shown]
	v_sub_f16_e32 v27, v2, v10
	v_add_f16_e32 v26, v0, v14
	v_sub_f16_e32 v0, v0, v14
	ds_write2_b32 v207, v3, v1 offset0:3 offset1:4
	v_sub_f16_e32 v1, v23, v6
	v_add_f16_e32 v2, v10, v2
	v_add_f16_e32 v3, v4, v24
	v_pack_b32_f16 v26, v26, v27
	v_add_f16_e32 v4, v234, v248
	v_sub_f16_e32 v6, v248, v244
	v_pack_b32_f16 v0, v0, v2
	v_pack_b32_f16 v1, v1, v3
	ds_write2_b32 v207, v26, v25 offset0:1 offset1:2
	ds_write2_b32 v207, v1, v0 offset0:5 offset1:6
	ds_write_b32 v207, v22
	v_add_f16_e32 v0, v235, v249
	v_add_f16_e32 v4, v244, v4
	v_sub_f16_e32 v2, v249, v245
	v_sub_f16_e32 v1, v235, v249
	;; [unrolled: 1-line block ×3, first 2 shown]
	v_add_f16_e32 v0, v245, v0
	v_add_f16_sdwa v20, v4, v251 dst_sel:DWORD dst_unused:UNUSED_PAD src0_sel:DWORD src1_sel:WORD_1
	v_sub_f16_e32 v5, v234, v248
	v_sub_f16_e32 v7, v244, v234
	;; [unrolled: 1-line block ×3, first 2 shown]
	v_add_f16_e32 v21, v0, v251
	v_lshlrev_b32_e32 v22, 16, v20
	v_sub_f16_e32 v13, v136, v232
	v_add_f16_e32 v8, v226, v233
	v_sub_f16_e32 v11, v233, v247
	v_add_f16_e32 v12, v136, v232
	v_or_b32_sdwa v22, v22, v21 dst_sel:DWORD dst_unused:UNUSED_PAD src0_sel:DWORD src1_sel:WORD_0
	v_fmac_f16_e32 v21, 0xbcab, v0
	v_mul_f16_e32 v0, 0x3a52, v2
	v_mul_f16_e32 v2, 0x3a52, v6
	v_sub_f16_e32 v15, v232, v246
	v_mul_f16_e32 v13, 0x3846, v13
	v_mul_f16_e32 v9, 0x3846, v9
	v_fma_f16 v23, v1, 0xb9e0, -v0
	v_fma_f16 v24, v5, 0xb9e0, -v2
	v_fmamk_f16 v0, v3, 0x2b26, v0
	v_fmamk_f16 v2, v7, 0x2b26, v2
	v_mul_f16_e32 v3, 0x2b26, v3
	v_mul_f16_e32 v7, 0x2b26, v7
	v_sub_f16_e32 v10, v247, v226
	v_add_f16_e32 v8, v8, v247
	v_sub_f16_e32 v14, v246, v136
	v_add_f16_e32 v12, v12, v246
	v_fmac_f16_e32 v20, 0xbcab, v4
	v_mul_f16_e32 v4, 0x3b00, v11
	v_mul_f16_e32 v6, 0x3b00, v15
	v_fma_f16 v1, v1, 0x39e0, -v3
	v_fma_f16 v3, v15, 0xbb00, -v13
	;; [unrolled: 1-line block ×4, first 2 shown]
	v_fmac_f16_e32 v4, 0x3574, v10
	v_fmac_f16_e32 v6, 0x3574, v14
	v_fmamk_f16 v10, v10, 0xb574, v9
	v_add_f16_e32 v1, v1, v21
	v_fmac_f16_e32 v3, 0xb70e, v12
	v_add_f16_e32 v5, v5, v20
	v_fmac_f16_e32 v7, 0xb70e, v8
	v_add_f16_e32 v23, v23, v21
	v_add_f16_e32 v24, v24, v20
	v_fmac_f16_e32 v6, 0xb70e, v12
	v_fmac_f16_e32 v4, 0xb70e, v8
	v_fmamk_f16 v14, v14, 0xb574, v13
	v_fmac_f16_e32 v10, 0xb70e, v8
	v_sub_f16_e32 v8, v1, v3
	v_add_f16_e32 v1, v3, v1
	v_sub_f16_e32 v3, v5, v7
	v_add_f16_e32 v5, v7, v5
	v_add_f16_e32 v25, v6, v23
	v_sub_f16_e32 v26, v24, v4
	v_add_f16_e32 v0, v0, v21
	v_add_f16_e32 v2, v2, v20
	v_fmac_f16_e32 v14, 0xb70e, v12
	v_pack_b32_f16 v1, v1, v3
	v_pack_b32_f16 v3, v8, v5
	;; [unrolled: 1-line block ×3, first 2 shown]
	v_sub_f16_e32 v27, v2, v10
	v_add_f16_e32 v26, v0, v14
	v_sub_f16_e32 v0, v0, v14
	ds_write2_b32 v208, v3, v1 offset0:3 offset1:4
	v_sub_f16_e32 v1, v23, v6
	v_add_f16_e32 v2, v10, v2
	v_add_f16_e32 v3, v4, v24
	v_pack_b32_f16 v26, v26, v27
	v_add_f16_e32 v4, v238, v135
	v_sub_f16_e32 v6, v135, v224
	v_pack_b32_f16 v0, v0, v2
	v_pack_b32_f16 v1, v1, v3
	ds_write2_b32 v208, v26, v25 offset0:1 offset1:2
	ds_write2_b32 v208, v1, v0 offset0:5 offset1:6
	ds_write_b32 v208, v22
	v_add_f16_e32 v0, v239, v225
	v_add_f16_e32 v4, v224, v4
	v_sub_f16_e32 v2, v225, v134
	v_sub_f16_e32 v1, v239, v225
	;; [unrolled: 1-line block ×3, first 2 shown]
	v_add_f16_e32 v0, v134, v0
	v_add_f16_sdwa v20, v4, v81 dst_sel:DWORD dst_unused:UNUSED_PAD src0_sel:DWORD src1_sel:WORD_1
	v_sub_f16_e32 v5, v238, v135
	v_sub_f16_e32 v7, v224, v238
	;; [unrolled: 1-line block ×3, first 2 shown]
	v_add_f16_e32 v21, v0, v81
	v_lshlrev_b32_e32 v22, 16, v20
	v_sub_f16_e32 v13, v45, v236
	v_add_f16_e32 v8, v221, v237
	v_sub_f16_e32 v11, v237, v133
	v_add_f16_e32 v12, v45, v236
	v_or_b32_sdwa v22, v22, v21 dst_sel:DWORD dst_unused:UNUSED_PAD src0_sel:DWORD src1_sel:WORD_0
	v_fmac_f16_e32 v21, 0xbcab, v0
	v_mul_f16_e32 v0, 0x3a52, v2
	v_mul_f16_e32 v2, 0x3a52, v6
	v_sub_f16_e32 v15, v236, v220
	v_mul_f16_e32 v13, 0x3846, v13
	v_mul_f16_e32 v9, 0x3846, v9
	v_fma_f16 v23, v1, 0xb9e0, -v0
	v_fma_f16 v24, v5, 0xb9e0, -v2
	v_fmamk_f16 v0, v3, 0x2b26, v0
	v_fmamk_f16 v2, v7, 0x2b26, v2
	v_mul_f16_e32 v3, 0x2b26, v3
	v_mul_f16_e32 v7, 0x2b26, v7
	v_sub_f16_e32 v10, v133, v221
	v_add_f16_e32 v8, v8, v133
	v_sub_f16_e32 v14, v220, v45
	v_add_f16_e32 v12, v12, v220
	v_fmac_f16_e32 v20, 0xbcab, v4
	v_mul_f16_e32 v4, 0x3b00, v11
	v_mul_f16_e32 v6, 0x3b00, v15
	v_fma_f16 v1, v1, 0x39e0, -v3
	v_fma_f16 v3, v15, 0xbb00, -v13
	;; [unrolled: 1-line block ×4, first 2 shown]
	v_fmac_f16_e32 v4, 0x3574, v10
	v_fmac_f16_e32 v6, 0x3574, v14
	v_fmamk_f16 v10, v10, 0xb574, v9
	v_add_f16_e32 v1, v1, v21
	v_fmac_f16_e32 v3, 0xb70e, v12
	v_add_f16_e32 v5, v5, v20
	v_fmac_f16_e32 v7, 0xb70e, v8
	v_add_f16_e32 v23, v23, v21
	v_add_f16_e32 v24, v24, v20
	v_fmac_f16_e32 v6, 0xb70e, v12
	v_fmac_f16_e32 v4, 0xb70e, v8
	v_fmamk_f16 v14, v14, 0xb574, v13
	v_fmac_f16_e32 v10, 0xb70e, v8
	v_sub_f16_e32 v8, v1, v3
	v_add_f16_e32 v1, v3, v1
	v_sub_f16_e32 v3, v5, v7
	v_add_f16_e32 v5, v7, v5
	v_add_f16_e32 v25, v6, v23
	v_sub_f16_e32 v26, v24, v4
	v_add_f16_e32 v0, v0, v21
	v_add_f16_e32 v2, v2, v20
	v_fmac_f16_e32 v14, 0xb70e, v12
	v_pack_b32_f16 v1, v1, v3
	v_pack_b32_f16 v3, v8, v5
	;; [unrolled: 1-line block ×3, first 2 shown]
	v_sub_f16_e32 v27, v2, v10
	v_add_f16_e32 v26, v0, v14
	v_sub_f16_e32 v0, v0, v14
	ds_write2_b32 v209, v3, v1 offset0:3 offset1:4
	v_sub_f16_e32 v1, v23, v6
	v_add_f16_e32 v2, v10, v2
	v_add_f16_e32 v3, v4, v24
	v_pack_b32_f16 v26, v26, v27
	v_pack_b32_f16 v0, v0, v2
	;; [unrolled: 1-line block ×3, first 2 shown]
	ds_write2_b32 v209, v26, v25 offset0:1 offset1:2
	ds_write2_b32 v209, v1, v0 offset0:5 offset1:6
	ds_write_b32 v209, v22
	s_waitcnt lgkmcnt(0)
	s_barrier
	buffer_gl0_inv
	ds_read2_b32 v[81:82], v193 offset0:38 offset1:87
	ds_read2_b32 v[123:124], v187 offset0:174 offset1:223
	;; [unrolled: 1-line block ×5, first 2 shown]
	s_waitcnt lgkmcnt(4)
	v_lshrrev_b32_e32 v0, 16, v82
	v_mul_f16_sdwa v1, v151, v82 dst_sel:DWORD dst_unused:UNUSED_PAD src0_sel:WORD_1 src1_sel:DWORD
	s_waitcnt lgkmcnt(1)
	v_lshrrev_b32_e32 v2, 16, v126
	v_mul_f16_sdwa v3, v158, v126 dst_sel:DWORD dst_unused:UNUSED_PAD src0_sel:WORD_1 src1_sel:DWORD
	v_mul_f16_sdwa v5, v151, v0 dst_sel:DWORD dst_unused:UNUSED_PAD src0_sel:WORD_1 src1_sel:DWORD
	v_fma_f16 v4, v151, v0, -v1
	v_lshrrev_b32_e32 v0, 16, v123
	v_mul_f16_sdwa v1, v152, v123 dst_sel:DWORD dst_unused:UNUSED_PAD src0_sel:WORD_1 src1_sel:DWORD
	v_mul_f16_sdwa v227, v158, v2 dst_sel:DWORD dst_unused:UNUSED_PAD src0_sel:WORD_1 src1_sel:DWORD
	v_fma_f16 v228, v158, v2, -v3
	v_fmac_f16_e32 v5, v151, v82
	v_mul_f16_sdwa v7, v152, v0 dst_sel:DWORD dst_unused:UNUSED_PAD src0_sel:WORD_1 src1_sel:DWORD
	v_fma_f16 v6, v152, v0, -v1
	v_lshrrev_b32_e32 v0, 16, v134
	v_mul_f16_sdwa v1, v153, v134 dst_sel:DWORD dst_unused:UNUSED_PAD src0_sel:WORD_1 src1_sel:DWORD
	v_fmac_f16_e32 v227, v158, v126
	v_fmac_f16_e32 v7, v152, v123
	s_waitcnt lgkmcnt(0)
	v_mul_f16_sdwa v10, v149, v36 dst_sel:DWORD dst_unused:UNUSED_PAD src0_sel:WORD_1 src1_sel:DWORD
	v_mul_f16_sdwa v15, v153, v0 dst_sel:DWORD dst_unused:UNUSED_PAD src0_sel:WORD_1 src1_sel:DWORD
	v_fma_f16 v14, v153, v0, -v1
	v_lshrrev_b32_e32 v0, 16, v125
	v_mul_f16_sdwa v1, v154, v125 dst_sel:DWORD dst_unused:UNUSED_PAD src0_sel:WORD_1 src1_sel:DWORD
	v_fmac_f16_e32 v15, v153, v134
	v_mul_f16_sdwa v41, v154, v0 dst_sel:DWORD dst_unused:UNUSED_PAD src0_sel:WORD_1 src1_sel:DWORD
	v_fma_f16 v40, v154, v0, -v1
	v_lshrrev_b32_e32 v0, 16, v124
	v_mul_f16_sdwa v1, v156, v124 dst_sel:DWORD dst_unused:UNUSED_PAD src0_sel:WORD_1 src1_sel:DWORD
	v_fmac_f16_e32 v41, v154, v125
	v_mul_f16_sdwa v209, v156, v0 dst_sel:DWORD dst_unused:UNUSED_PAD src0_sel:WORD_1 src1_sel:DWORD
	v_fma_f16 v229, v156, v0, -v1
	ds_read2_b32 v[0:1], v193 offset0:136 offset1:185
	v_fmac_f16_e32 v209, v156, v124
	s_waitcnt lgkmcnt(0)
	v_lshrrev_b32_e32 v2, 16, v0
	v_mul_f16_sdwa v3, v155, v0 dst_sel:DWORD dst_unused:UNUSED_PAD src0_sel:WORD_1 src1_sel:DWORD
	v_mul_f16_sdwa v233, v155, v2 dst_sel:DWORD dst_unused:UNUSED_PAD src0_sel:WORD_1 src1_sel:DWORD
	v_fma_f16 v231, v155, v2, -v3
	ds_read2_b32 v[2:3], v183 offset0:54 offset1:103
	v_fmac_f16_e32 v233, v155, v0
	v_lshrrev_b32_e32 v0, 16, v1
	v_mul_f16_sdwa v198, v95, v0 dst_sel:DWORD dst_unused:UNUSED_PAD src0_sel:WORD_1 src1_sel:DWORD
	v_fmac_f16_e32 v198, v95, v1
	v_mul_f16_sdwa v1, v95, v1 dst_sel:DWORD dst_unused:UNUSED_PAD src0_sel:WORD_1 src1_sel:DWORD
	s_waitcnt lgkmcnt(0)
	v_lshrrev_b32_e32 v8, 16, v2
	v_fma_f16 v201, v95, v0, -v1
	ds_read2_b32 v[0:1], v186 offset0:16 offset1:65
	v_mul_f16_sdwa v9, v157, v2 dst_sel:DWORD dst_unused:UNUSED_PAD src0_sel:WORD_1 src1_sel:DWORD
	v_mul_f16_sdwa v232, v157, v8 dst_sel:DWORD dst_unused:UNUSED_PAD src0_sel:WORD_1 src1_sel:DWORD
	v_fma_f16 v230, v157, v8, -v9
	v_fmac_f16_e32 v232, v157, v2
	v_lshrrev_b32_e32 v2, 16, v3
	v_mul_f16_sdwa v199, v97, v2 dst_sel:DWORD dst_unused:UNUSED_PAD src0_sel:WORD_1 src1_sel:DWORD
	v_fmac_f16_e32 v199, v97, v3
	v_mul_f16_sdwa v3, v97, v3 dst_sel:DWORD dst_unused:UNUSED_PAD src0_sel:WORD_1 src1_sel:DWORD
	v_fma_f16 v200, v97, v2, -v3
	s_waitcnt lgkmcnt(0)
	v_lshrrev_b32_e32 v2, 16, v0
	v_mul_f16_sdwa v3, v96, v0 dst_sel:DWORD dst_unused:UNUSED_PAD src0_sel:WORD_1 src1_sel:DWORD
	v_mul_f16_sdwa v206, v96, v2 dst_sel:DWORD dst_unused:UNUSED_PAD src0_sel:WORD_1 src1_sel:DWORD
	v_fma_f16 v202, v96, v2, -v3
	ds_read2_b32 v[2:3], v184 offset0:190 offset1:239
	v_fmac_f16_e32 v206, v96, v0
	v_lshrrev_b32_e32 v0, 16, v1
	v_mul_f16_sdwa v124, v100, v0 dst_sel:DWORD dst_unused:UNUSED_PAD src0_sel:WORD_1 src1_sel:DWORD
	v_fmac_f16_e32 v124, v100, v1
	v_mul_f16_sdwa v1, v100, v1 dst_sel:DWORD dst_unused:UNUSED_PAD src0_sel:WORD_1 src1_sel:DWORD
	s_waitcnt lgkmcnt(0)
	v_lshrrev_b32_e32 v8, 16, v2
	v_fma_f16 v127, v100, v0, -v1
	ds_read2_b32 v[0:1], v191 offset0:106 offset1:155
	v_mul_f16_sdwa v9, v98, v2 dst_sel:DWORD dst_unused:UNUSED_PAD src0_sel:WORD_1 src1_sel:DWORD
	v_mul_f16_sdwa v208, v98, v8 dst_sel:DWORD dst_unused:UNUSED_PAD src0_sel:WORD_1 src1_sel:DWORD
	v_fma_f16 v207, v98, v8, -v9
	v_fmac_f16_e32 v208, v98, v2
	v_lshrrev_b32_e32 v2, 16, v3
	v_mul_f16_sdwa v125, v102, v2 dst_sel:DWORD dst_unused:UNUSED_PAD src0_sel:WORD_1 src1_sel:DWORD
	v_fmac_f16_e32 v125, v102, v3
	v_mul_f16_sdwa v3, v102, v3 dst_sel:DWORD dst_unused:UNUSED_PAD src0_sel:WORD_1 src1_sel:DWORD
	v_fma_f16 v126, v102, v2, -v3
	;; [unrolled: 24-line block ×3, first 2 shown]
	s_waitcnt lgkmcnt(0)
	v_lshrrev_b32_e32 v2, 16, v0
	v_mul_f16_sdwa v3, v140, v0 dst_sel:DWORD dst_unused:UNUSED_PAD src0_sel:WORD_1 src1_sel:DWORD
	v_mul_f16_sdwa v39, v140, v2 dst_sel:DWORD dst_unused:UNUSED_PAD src0_sel:WORD_1 src1_sel:DWORD
	v_fma_f16 v38, v140, v2, -v3
	ds_read2_b32 v[2:3], v192 offset0:32 offset1:81
	v_fmac_f16_e32 v39, v140, v0
	v_lshrrev_b32_e32 v0, 16, v1
	v_mul_f16_sdwa v24, v144, v0 dst_sel:DWORD dst_unused:UNUSED_PAD src0_sel:WORD_1 src1_sel:DWORD
	v_fmac_f16_e32 v24, v144, v1
	v_mul_f16_sdwa v1, v144, v1 dst_sel:DWORD dst_unused:UNUSED_PAD src0_sel:WORD_1 src1_sel:DWORD
	s_waitcnt lgkmcnt(0)
	v_lshrrev_b32_e32 v8, 16, v2
	v_fma_f16 v26, v144, v0, -v1
	ds_read2_b32 v[0:1], v187 offset0:76 offset1:125
	v_mul_f16_sdwa v9, v142, v2 dst_sel:DWORD dst_unused:UNUSED_PAD src0_sel:WORD_1 src1_sel:DWORD
	v_mul_f16_sdwa v123, v142, v8 dst_sel:DWORD dst_unused:UNUSED_PAD src0_sel:WORD_1 src1_sel:DWORD
	v_fma_f16 v82, v142, v8, -v9
	v_lshrrev_b32_e32 v8, 16, v36
	v_fmac_f16_e32 v123, v142, v2
	v_lshrrev_b32_e32 v2, 16, v3
	v_mul_f16_sdwa v20, v149, v8 dst_sel:DWORD dst_unused:UNUSED_PAD src0_sel:WORD_1 src1_sel:DWORD
	v_fma_f16 v8, v149, v8, -v10
	v_mul_f16_sdwa v25, v146, v2 dst_sel:DWORD dst_unused:UNUSED_PAD src0_sel:WORD_1 src1_sel:DWORD
	v_fmac_f16_e32 v20, v149, v36
	v_fmac_f16_e32 v25, v146, v3
	v_mul_f16_sdwa v3, v146, v3 dst_sel:DWORD dst_unused:UNUSED_PAD src0_sel:WORD_1 src1_sel:DWORD
	v_fma_f16 v23, v146, v2, -v3
	s_waitcnt lgkmcnt(0)
	v_lshrrev_b32_e32 v2, 16, v0
	v_mul_f16_sdwa v3, v143, v0 dst_sel:DWORD dst_unused:UNUSED_PAD src0_sel:WORD_1 src1_sel:DWORD
	v_mul_f16_sdwa v30, v143, v2 dst_sel:DWORD dst_unused:UNUSED_PAD src0_sel:WORD_1 src1_sel:DWORD
	v_fma_f16 v28, v143, v2, -v3
	v_lshrrev_b32_e32 v2, 16, v35
	v_mul_f16_sdwa v3, v145, v35 dst_sel:DWORD dst_unused:UNUSED_PAD src0_sel:WORD_1 src1_sel:DWORD
	v_fmac_f16_e32 v30, v143, v0
	v_lshrrev_b32_e32 v0, 16, v1
	v_mul_f16_sdwa v29, v145, v2 dst_sel:DWORD dst_unused:UNUSED_PAD src0_sel:WORD_1 src1_sel:DWORD
	v_fma_f16 v27, v145, v2, -v3
	v_lshrrev_b32_e32 v2, 16, v133
	v_mul_f16_sdwa v3, v148, v133 dst_sel:DWORD dst_unused:UNUSED_PAD src0_sel:WORD_1 src1_sel:DWORD
	v_mul_f16_sdwa v249, v147, v0 dst_sel:DWORD dst_unused:UNUSED_PAD src0_sel:WORD_1 src1_sel:DWORD
	v_fmac_f16_e32 v29, v145, v35
	v_mul_f16_sdwa v136, v148, v2 dst_sel:DWORD dst_unused:UNUSED_PAD src0_sel:WORD_1 src1_sel:DWORD
	v_fma_f16 v9, v148, v2, -v3
	v_fmac_f16_e32 v249, v147, v1
	v_mul_f16_sdwa v1, v147, v1 dst_sel:DWORD dst_unused:UNUSED_PAD src0_sel:WORD_1 src1_sel:DWORD
	v_fmac_f16_e32 v136, v148, v133
	v_fma_f16 v21, v147, v0, -v1
	ds_read2_b32 v[0:1], v192 offset0:130 offset1:179
	s_waitcnt lgkmcnt(0)
	v_lshrrev_b32_e32 v2, 16, v0
	v_mul_f16_sdwa v3, v150, v0 dst_sel:DWORD dst_unused:UNUSED_PAD src0_sel:WORD_1 src1_sel:DWORD
	v_mul_f16_sdwa v22, v150, v2 dst_sel:DWORD dst_unused:UNUSED_PAD src0_sel:WORD_1 src1_sel:DWORD
	v_fma_f16 v10, v150, v2, -v3
	v_fmac_f16_e32 v22, v150, v0
	v_lshrrev_b32_e32 v0, 16, v1
	v_mul_f16_sdwa v2, v179, v0 dst_sel:DWORD dst_unused:UNUSED_PAD src0_sel:WORD_1 src1_sel:DWORD
	v_fmac_f16_e32 v2, v179, v1
	v_mul_f16_sdwa v1, v179, v1 dst_sel:DWORD dst_unused:UNUSED_PAD src0_sel:WORD_1 src1_sel:DWORD
	v_add_f16_e32 v244, v7, v2
	v_fma_f16 v3, v179, v0, -v1
	ds_read2_b32 v[0:1], v182 offset0:10 offset1:59
	v_sub_f16_e32 v245, v7, v2
	v_add_f16_e32 v2, v14, v40
	v_add_f16_e32 v247, v6, v3
	v_sub_f16_e32 v246, v6, v3
	v_sub_f16_e32 v3, v40, v14
	;; [unrolled: 1-line block ×3, first 2 shown]
	s_waitcnt lgkmcnt(0)
	v_lshrrev_b32_e32 v11, 16, v0
	v_mul_f16_sdwa v12, v180, v0 dst_sel:DWORD dst_unused:UNUSED_PAD src0_sel:WORD_1 src1_sel:DWORD
	v_mul_f16_sdwa v13, v180, v11 dst_sel:DWORD dst_unused:UNUSED_PAD src0_sel:WORD_1 src1_sel:DWORD
	v_fma_f16 v42, v180, v11, -v12
	v_fmac_f16_e32 v13, v180, v0
	v_lshrrev_b32_e32 v0, 16, v1
	v_add_f16_e32 v96, v4, v42
	v_sub_f16_e32 v93, v4, v42
	v_mul_f16_sdwa v240, v168, v0 dst_sel:DWORD dst_unused:UNUSED_PAD src0_sel:WORD_1 src1_sel:DWORD
	v_sub_f16_e32 v87, v93, v3
	v_fmac_f16_e32 v240, v168, v1
	v_mul_f16_sdwa v1, v168, v1 dst_sel:DWORD dst_unused:UNUSED_PAD src0_sel:WORD_1 src1_sel:DWORD
	v_fma_f16 v242, v168, v0, -v1
	ds_read2_b32 v[0:1], v185 offset0:100 offset1:149
	s_waitcnt lgkmcnt(0)
	v_lshrrev_b32_e32 v11, 16, v0
	v_mul_f16_sdwa v12, v167, v0 dst_sel:DWORD dst_unused:UNUSED_PAD src0_sel:WORD_1 src1_sel:DWORD
	v_mul_f16_sdwa v243, v167, v11 dst_sel:DWORD dst_unused:UNUSED_PAD src0_sel:WORD_1 src1_sel:DWORD
	v_fma_f16 v241, v167, v11, -v12
	v_fmac_f16_e32 v243, v167, v0
	v_lshrrev_b32_e32 v0, 16, v1
	v_mul_f16_sdwa v236, v171, v0 dst_sel:DWORD dst_unused:UNUSED_PAD src0_sel:WORD_1 src1_sel:DWORD
	v_fmac_f16_e32 v236, v171, v1
	v_mul_f16_sdwa v1, v171, v1 dst_sel:DWORD dst_unused:UNUSED_PAD src0_sel:WORD_1 src1_sel:DWORD
	v_fma_f16 v237, v171, v0, -v1
	ds_read2_b32 v[0:1], v182 offset0:108 offset1:157
	s_waitcnt lgkmcnt(0)
	v_lshrrev_b32_e32 v11, 16, v0
	v_mul_f16_sdwa v12, v172, v0 dst_sel:DWORD dst_unused:UNUSED_PAD src0_sel:WORD_1 src1_sel:DWORD
	v_mul_f16_sdwa v239, v172, v11 dst_sel:DWORD dst_unused:UNUSED_PAD src0_sel:WORD_1 src1_sel:DWORD
	v_fma_f16 v238, v172, v11, -v12
	v_fmac_f16_e32 v239, v172, v0
	v_lshrrev_b32_e32 v0, 16, v1
	v_mul_f16_sdwa v101, v176, v0 dst_sel:DWORD dst_unused:UNUSED_PAD src0_sel:WORD_1 src1_sel:DWORD
	;; [unrolled: 12-line block ×4, first 2 shown]
	v_fmac_f16_e32 v83, v174, v1
	v_mul_f16_sdwa v1, v174, v1 dst_sel:DWORD dst_unused:UNUSED_PAD src0_sel:WORD_1 src1_sel:DWORD
	v_fma_f16 v94, v174, v0, -v1
	ds_read2_b32 v[0:1], v188 offset0:168 offset1:217
	s_waitcnt lgkmcnt(0)
	v_lshrrev_b32_e32 v11, 16, v0
	v_mul_f16_sdwa v12, v173, v0 dst_sel:DWORD dst_unused:UNUSED_PAD src0_sel:WORD_1 src1_sel:DWORD
	v_mul_f16_sdwa v95, v173, v11 dst_sel:DWORD dst_unused:UNUSED_PAD src0_sel:WORD_1 src1_sel:DWORD
	v_fma_f16 v84, v173, v11, -v12
	v_add_f16_e32 v12, v5, v13
	v_sub_f16_e32 v13, v5, v13
	v_fmac_f16_e32 v95, v173, v0
	v_lshrrev_b32_e32 v0, 16, v1
	v_add_f16_e32 v4, v244, v12
	v_mul_f16_sdwa v11, v177, v0 dst_sel:DWORD dst_unused:UNUSED_PAD src0_sel:WORD_1 src1_sel:DWORD
	v_fmac_f16_e32 v11, v177, v1
	v_mul_f16_sdwa v1, v177, v1 dst_sel:DWORD dst_unused:UNUSED_PAD src0_sel:WORD_1 src1_sel:DWORD
	v_fma_f16 v31, v177, v0, -v1
	ds_read_b32 v0, v132 offset:9408
	s_waitcnt lgkmcnt(0)
	v_lshrrev_b32_e32 v1, 16, v0
	v_mul_f16_sdwa v35, v178, v1 dst_sel:DWORD dst_unused:UNUSED_PAD src0_sel:WORD_1 src1_sel:DWORD
	v_fmac_f16_e32 v35, v178, v0
	v_mul_f16_sdwa v0, v178, v0 dst_sel:DWORD dst_unused:UNUSED_PAD src0_sel:WORD_1 src1_sel:DWORD
	v_fma_f16 v36, v178, v1, -v0
	v_add_f16_e32 v0, v15, v41
	v_sub_f16_e32 v1, v41, v15
	v_sub_f16_e32 v15, v246, v93
	v_mul_f16_e32 v41, 0x2b26, v220
	v_add_f16_e32 v6, v0, v4
	v_add_f16_e32 v4, v247, v96
	v_sub_f16_e32 v221, v0, v244
	v_sub_f16_e32 v85, v13, v1
	v_add_f16_e32 v7, v2, v4
	ds_read2_b32 v[4:5], v132 offset1:49
	v_mul_f16_e32 v40, 0x2b26, v221
	s_waitcnt lgkmcnt(0)
	v_add_f16_sdwa v248, v7, v4 dst_sel:DWORD dst_unused:UNUSED_PAD src0_sel:DWORD src1_sel:WORD_1
	v_add_f16_e32 v4, v6, v4
	v_lshlrev_b32_e32 v14, 16, v248
	v_fmac_f16_e32 v248, 0xbcab, v7
	v_sub_f16_e32 v7, v1, v245
	v_or_b32_sdwa v86, v14, v4 dst_sel:DWORD dst_unused:UNUSED_PAD src0_sel:DWORD src1_sel:WORD_0
	v_fmac_f16_e32 v4, 0xbcab, v6
	v_sub_f16_e32 v6, v12, v0
	v_sub_f16_e32 v0, v96, v2
	;; [unrolled: 1-line block ×3, first 2 shown]
	v_add_f16_e32 v2, v1, v245
	v_add_f16_e32 v1, v3, v246
	v_mul_f16_e32 v135, 0x3a52, v6
	v_mul_f16_e32 v133, 0x3a52, v0
	;; [unrolled: 1-line block ×4, first 2 shown]
	v_add_f16_e32 v250, v2, v13
	v_fmamk_f16 v0, v221, 0x2b26, v135
	v_add_f16_e32 v251, v1, v93
	v_fmamk_f16 v225, v85, 0xb574, v134
	v_fmamk_f16 v80, v87, 0xb574, v224
	v_sub_f16_e32 v13, v245, v13
	v_add_f16_e32 v6, v0, v4
	v_fmamk_f16 v0, v220, 0x2b26, v133
	v_fmac_f16_e32 v225, 0xb70e, v250
	v_fmac_f16_e32 v80, 0xb70e, v251
	v_sub_f16_e32 v12, v244, v12
	v_fma_f16 v42, v13, 0xbb00, -v134
	v_add_f16_e32 v7, v0, v248
	v_mul_f16_e32 v13, 0x3b00, v13
	v_add_f16_e32 v0, v80, v6
	v_fma_f16 v43, v15, 0xbb00, -v224
	v_mul_f16_e32 v15, 0x3b00, v15
	v_sub_f16_e32 v226, v7, v225
	v_fma_f16 v40, v12, 0x39e0, -v40
	v_fma_f16 v12, v12, 0xb9e0, -v135
	v_fmac_f16_e32 v13, 0x3574, v85
	v_fmac_f16_e32 v15, 0x3574, v87
	v_pack_b32_f16 v14, v0, v226
	ds_read2_b32 v[0:1], v132 offset0:98 offset1:147
	ds_read2_b32 v[2:3], v132 offset0:196 offset1:245
	s_waitcnt lgkmcnt(0)
	s_barrier
	buffer_gl0_inv
	ds_write2_b32 v204, v86, v14 offset1:7
	v_sub_f16_e32 v14, v247, v96
	v_add_f16_e32 v40, v40, v4
	v_add_f16_e32 v4, v12, v4
	v_fmac_f16_e32 v13, 0xb70e, v250
	v_fmac_f16_e32 v15, 0xb70e, v251
	v_fma_f16 v41, v14, 0x39e0, -v41
	v_fma_f16 v14, v14, 0xb9e0, -v133
	v_fmac_f16_e32 v42, 0xb70e, v250
	v_fmac_f16_e32 v43, 0xb70e, v251
	v_add_f16_e32 v12, v41, v248
	v_add_f16_e32 v14, v14, v248
	;; [unrolled: 1-line block ×3, first 2 shown]
	v_sub_f16_e32 v4, v4, v15
	v_add_f16_e32 v15, v229, v241
	v_add_f16_e32 v45, v42, v12
	v_sub_f16_e32 v44, v14, v13
	v_sub_f16_e32 v12, v12, v42
	v_add_f16_e32 v13, v13, v14
	v_sub_f16_e32 v14, v209, v243
	v_sub_f16_e32 v42, v227, v232
	v_pack_b32_f16 v41, v41, v44
	v_sub_f16_e32 v44, v40, v43
	v_add_f16_e32 v40, v43, v40
	v_pack_b32_f16 v4, v4, v13
	v_add_f16_e32 v13, v209, v243
	v_add_f16_e32 v43, v230, v228
	v_pack_b32_f16 v44, v44, v45
	v_pack_b32_f16 v12, v40, v12
	v_sub_f16_e32 v40, v229, v241
	v_add_f16_e32 v85, v42, v14
	v_sub_f16_e32 v86, v42, v14
	ds_write2_b32 v204, v41, v44 offset0:14 offset1:21
	ds_write2_b32 v204, v12, v4 offset0:28 offset1:35
	v_sub_f16_e32 v4, v6, v80
	v_add_f16_e32 v6, v225, v7
	v_add_f16_e32 v7, v231, v242
	;; [unrolled: 1-line block ×3, first 2 shown]
	v_sub_f16_e32 v44, v228, v230
	v_sub_f16_e32 v12, v231, v242
	v_pack_b32_f16 v4, v4, v6
	v_add_f16_e32 v45, v15, v7
	v_sub_f16_e32 v6, v233, v240
	v_add_f16_e32 v87, v44, v40
	v_sub_f16_e32 v88, v44, v40
	ds_write_b32 v204, v4 offset:168
	v_add_f16_e32 v4, v233, v240
	v_add_f16_e32 v45, v43, v45
	v_sub_f16_e32 v42, v6, v42
	v_sub_f16_e32 v44, v12, v44
	v_add_f16_e32 v85, v85, v6
	v_add_f16_e32 v46, v13, v4
	v_add_f16_sdwa v47, v45, v5 dst_sel:DWORD dst_unused:UNUSED_PAD src0_sel:DWORD src1_sel:WORD_1
	v_add_f16_e32 v87, v87, v12
	v_mul_f16_e32 v86, 0x3846, v86
	v_mul_f16_e32 v88, 0x3846, v88
	v_add_f16_e32 v46, v41, v46
	v_lshlrev_b32_e32 v80, 16, v47
	v_fmac_f16_e32 v47, 0xbcab, v45
	v_sub_f16_e32 v45, v4, v41
	v_sub_f16_e32 v41, v41, v13
	v_add_f16_e32 v5, v46, v5
	v_sub_f16_e32 v6, v14, v6
	v_sub_f16_e32 v12, v40, v12
	v_mul_f16_e32 v45, 0x3a52, v45
	v_sub_f16_e32 v4, v13, v4
	v_or_b32_sdwa v80, v80, v5 dst_sel:DWORD dst_unused:UNUSED_PAD src0_sel:DWORD src1_sel:WORD_0
	v_fmac_f16_e32 v5, 0xbcab, v46
	v_sub_f16_e32 v46, v7, v43
	v_sub_f16_e32 v43, v43, v15
	;; [unrolled: 1-line block ×3, first 2 shown]
	v_mul_f16_e32 v13, 0x2b26, v41
	v_fma_f16 v15, v6, 0xbb00, -v86
	v_mul_f16_e32 v46, 0x3a52, v46
	v_mul_f16_e32 v14, 0x2b26, v43
	;; [unrolled: 1-line block ×3, first 2 shown]
	v_fma_f16 v40, v12, 0xbb00, -v88
	v_mul_f16_e32 v12, 0x3b00, v12
	v_fma_f16 v13, v4, 0x39e0, -v13
	v_fma_f16 v4, v4, 0xb9e0, -v45
	;; [unrolled: 1-line block ×4, first 2 shown]
	v_fmac_f16_e32 v6, 0x3574, v42
	v_fmac_f16_e32 v12, 0x3574, v44
	v_fmamk_f16 v93, v41, 0x2b26, v45
	v_add_f16_e32 v4, v4, v5
	v_add_f16_e32 v7, v7, v47
	v_fmac_f16_e32 v6, 0xb70e, v85
	v_fmac_f16_e32 v12, 0xb70e, v87
	v_add_f16_e32 v93, v93, v5
	v_add_f16_e32 v13, v13, v5
	;; [unrolled: 1-line block ×3, first 2 shown]
	v_fmac_f16_e32 v15, 0xb70e, v85
	v_fmac_f16_e32 v40, 0xb70e, v87
	v_add_f16_e32 v14, v12, v4
	v_sub_f16_e32 v41, v7, v6
	v_fmamk_f16 v96, v43, 0x2b26, v46
	v_fmamk_f16 v133, v44, 0xb574, v88
	;; [unrolled: 1-line block ×3, first 2 shown]
	v_add_f16_e32 v42, v15, v5
	v_pack_b32_f16 v14, v14, v41
	v_sub_f16_e32 v41, v13, v40
	v_add_f16_e32 v13, v40, v13
	v_sub_f16_e32 v5, v5, v15
	v_sub_f16_e32 v4, v4, v12
	v_add_f16_e32 v6, v6, v7
	v_add_f16_e32 v96, v96, v47
	v_fmac_f16_e32 v133, 0xb70e, v87
	v_fmac_f16_e32 v134, 0xb70e, v85
	v_pack_b32_f16 v5, v13, v5
	v_pack_b32_f16 v4, v4, v6
	;; [unrolled: 1-line block ×3, first 2 shown]
	v_add_f16_e32 v6, v201, v238
	v_add_f16_e32 v12, v206, v236
	;; [unrolled: 1-line block ×3, first 2 shown]
	ds_write2_b32 v210, v5, v4 offset0:28 offset1:35
	v_sub_f16_e32 v4, v93, v133
	v_add_f16_e32 v5, v134, v96
	ds_write2_b32 v210, v14, v41 offset0:14 offset1:21
	v_add_f16_e32 v14, v202, v237
	v_add_f16_e32 v135, v133, v93
	v_sub_f16_e32 v139, v96, v134
	v_pack_b32_f16 v4, v4, v5
	v_add_f16_e32 v40, v199, v208
	v_add_f16_e32 v44, v14, v6
	v_sub_f16_e32 v13, v206, v236
	v_pack_b32_f16 v135, v135, v139
	ds_write_b32 v210, v4 offset:168
	v_add_f16_e32 v4, v198, v239
	v_add_f16_e32 v44, v42, v44
	v_sub_f16_e32 v15, v202, v237
	v_sub_f16_e32 v41, v208, v199
	;; [unrolled: 1-line block ×3, first 2 shown]
	v_add_f16_e32 v45, v12, v4
	v_add_f16_sdwa v46, v44, v0 dst_sel:DWORD dst_unused:UNUSED_PAD src0_sel:DWORD src1_sel:WORD_1
	ds_write2_b32 v210, v80, v135 offset1:7
	v_sub_f16_e32 v5, v198, v239
	v_sub_f16_e32 v7, v201, v238
	v_add_f16_e32 v45, v40, v45
	v_lshlrev_b32_e32 v47, 16, v46
	v_add_f16_e32 v80, v41, v13
	v_sub_f16_e32 v85, v41, v13
	v_add_f16_e32 v86, v43, v15
	v_add_f16_e32 v0, v45, v0
	v_sub_f16_e32 v87, v43, v15
	v_fmac_f16_e32 v46, 0xbcab, v44
	v_sub_f16_e32 v44, v4, v40
	v_sub_f16_e32 v40, v40, v12
	v_or_b32_sdwa v47, v47, v0 dst_sel:DWORD dst_unused:UNUSED_PAD src0_sel:DWORD src1_sel:WORD_0
	v_fmac_f16_e32 v0, 0xbcab, v45
	v_sub_f16_e32 v45, v6, v42
	v_sub_f16_e32 v42, v42, v14
	;; [unrolled: 1-line block ×4, first 2 shown]
	v_add_f16_e32 v80, v80, v5
	v_add_f16_e32 v86, v86, v7
	v_mul_f16_e32 v85, 0x3846, v85
	v_mul_f16_e32 v87, 0x3846, v87
	v_sub_f16_e32 v5, v13, v5
	v_sub_f16_e32 v7, v15, v7
	v_mul_f16_e32 v44, 0x3a52, v44
	v_mul_f16_e32 v45, 0x3a52, v45
	v_sub_f16_e32 v4, v12, v4
	v_sub_f16_e32 v6, v14, v6
	v_mul_f16_e32 v12, 0x2b26, v40
	v_mul_f16_e32 v13, 0x2b26, v42
	v_fma_f16 v14, v5, 0xbb00, -v85
	v_mul_f16_e32 v5, 0x3b00, v5
	v_fma_f16 v15, v7, 0xbb00, -v87
	v_mul_f16_e32 v7, 0x3b00, v7
	v_fmamk_f16 v88, v40, 0x2b26, v44
	v_fma_f16 v12, v4, 0x39e0, -v12
	v_fma_f16 v4, v4, 0xb9e0, -v44
	;; [unrolled: 1-line block ×4, first 2 shown]
	v_fmac_f16_e32 v5, 0x3574, v41
	v_fmac_f16_e32 v7, 0x3574, v43
	v_add_f16_e32 v88, v88, v0
	v_add_f16_e32 v12, v12, v0
	;; [unrolled: 1-line block ×4, first 2 shown]
	v_fmac_f16_e32 v5, 0xb70e, v80
	v_fmac_f16_e32 v7, 0xb70e, v86
	v_add_f16_e32 v4, v13, v46
	v_fmac_f16_e32 v14, 0xb70e, v80
	v_fmac_f16_e32 v15, 0xb70e, v86
	v_sub_f16_e32 v40, v6, v5
	v_add_f16_e32 v13, v7, v0
	v_fmamk_f16 v93, v42, 0x2b26, v45
	v_fmamk_f16 v96, v43, 0xb574, v87
	;; [unrolled: 1-line block ×3, first 2 shown]
	v_add_f16_e32 v41, v14, v4
	v_pack_b32_f16 v13, v13, v40
	v_sub_f16_e32 v40, v12, v15
	v_add_f16_e32 v12, v15, v12
	v_sub_f16_e32 v4, v4, v14
	v_sub_f16_e32 v0, v0, v7
	v_add_f16_e32 v5, v5, v6
	v_add_f16_e32 v93, v93, v46
	v_fmac_f16_e32 v96, 0xb70e, v86
	v_fmac_f16_e32 v133, 0xb70e, v80
	v_pack_b32_f16 v4, v12, v4
	v_pack_b32_f16 v0, v0, v5
	;; [unrolled: 1-line block ×3, first 2 shown]
	v_add_f16_e32 v5, v129, v234
	v_add_f16_e32 v7, v124, v235
	;; [unrolled: 1-line block ×3, first 2 shown]
	ds_write2_b32 v212, v4, v0 offset0:28 offset1:35
	v_sub_f16_e32 v0, v88, v96
	v_add_f16_e32 v4, v133, v93
	ds_write2_b32 v212, v13, v40 offset0:14 offset1:21
	v_add_f16_e32 v13, v127, v102
	v_add_f16_e32 v134, v96, v88
	v_sub_f16_e32 v135, v93, v133
	v_pack_b32_f16 v0, v0, v4
	v_add_f16_e32 v15, v130, v125
	v_add_f16_e32 v43, v13, v5
	v_sub_f16_e32 v12, v124, v235
	v_pack_b32_f16 v134, v134, v135
	ds_write_b32 v212, v0 offset:168
	v_add_f16_e32 v0, v131, v101
	v_add_f16_e32 v43, v41, v43
	v_sub_f16_e32 v14, v127, v102
	v_sub_f16_e32 v40, v125, v130
	v_sub_f16_e32 v42, v126, v128
	v_add_f16_e32 v44, v7, v0
	v_add_f16_sdwa v45, v43, v1 dst_sel:DWORD dst_unused:UNUSED_PAD src0_sel:DWORD src1_sel:WORD_1
	ds_write2_b32 v212, v47, v134 offset1:7
	v_sub_f16_e32 v4, v131, v101
	v_sub_f16_e32 v6, v129, v234
	v_add_f16_e32 v44, v15, v44
	v_lshlrev_b32_e32 v46, 16, v45
	v_add_f16_e32 v47, v40, v12
	v_sub_f16_e32 v80, v40, v12
	v_add_f16_e32 v85, v42, v14
	v_add_f16_e32 v1, v44, v1
	v_sub_f16_e32 v86, v42, v14
	v_fmac_f16_e32 v45, 0xbcab, v43
	v_sub_f16_e32 v43, v0, v15
	v_sub_f16_e32 v15, v15, v7
	v_or_b32_sdwa v46, v46, v1 dst_sel:DWORD dst_unused:UNUSED_PAD src0_sel:DWORD src1_sel:WORD_0
	v_fmac_f16_e32 v1, 0xbcab, v44
	v_sub_f16_e32 v44, v5, v41
	v_sub_f16_e32 v41, v41, v13
	;; [unrolled: 1-line block ×4, first 2 shown]
	v_add_f16_e32 v47, v47, v4
	v_add_f16_e32 v85, v85, v6
	v_mul_f16_e32 v80, 0x3846, v80
	v_mul_f16_e32 v86, 0x3846, v86
	v_sub_f16_e32 v4, v12, v4
	v_sub_f16_e32 v6, v14, v6
	v_mul_f16_e32 v43, 0x3a52, v43
	v_mul_f16_e32 v44, 0x3a52, v44
	v_sub_f16_e32 v0, v7, v0
	v_sub_f16_e32 v5, v13, v5
	v_mul_f16_e32 v7, 0x2b26, v15
	v_mul_f16_e32 v12, 0x2b26, v41
	v_fma_f16 v13, v4, 0xbb00, -v80
	v_mul_f16_e32 v4, 0x3b00, v4
	v_fma_f16 v14, v6, 0xbb00, -v86
	;; [unrolled: 2-line block ×3, first 2 shown]
	v_fma_f16 v0, v0, 0xb9e0, -v43
	v_fma_f16 v12, v5, 0x39e0, -v12
	;; [unrolled: 1-line block ×3, first 2 shown]
	v_fmac_f16_e32 v4, 0x3574, v40
	v_fmac_f16_e32 v6, 0x3574, v42
	v_fmamk_f16 v87, v15, 0x2b26, v43
	v_add_f16_e32 v0, v0, v1
	v_add_f16_e32 v5, v5, v45
	v_fmac_f16_e32 v4, 0xb70e, v47
	v_fmac_f16_e32 v6, 0xb70e, v85
	v_add_f16_e32 v87, v87, v1
	v_add_f16_e32 v7, v7, v1
	;; [unrolled: 1-line block ×3, first 2 shown]
	v_fmac_f16_e32 v13, 0xb70e, v47
	v_fmac_f16_e32 v14, 0xb70e, v85
	v_add_f16_e32 v12, v6, v0
	v_sub_f16_e32 v15, v5, v4
	v_fmamk_f16 v88, v41, 0x2b26, v44
	v_fmamk_f16 v93, v42, 0xb574, v86
	;; [unrolled: 1-line block ×3, first 2 shown]
	v_add_f16_e32 v40, v13, v1
	v_pack_b32_f16 v12, v12, v15
	v_sub_f16_e32 v15, v7, v14
	v_add_f16_e32 v7, v14, v7
	v_sub_f16_e32 v1, v1, v13
	v_sub_f16_e32 v0, v0, v6
	v_add_f16_e32 v4, v4, v5
	v_add_f16_e32 v88, v88, v45
	v_fmac_f16_e32 v93, 0xb70e, v85
	v_fmac_f16_e32 v96, 0xb70e, v47
	v_pack_b32_f16 v1, v7, v1
	v_pack_b32_f16 v0, v0, v4
	;; [unrolled: 1-line block ×3, first 2 shown]
	v_add_f16_e32 v4, v37, v99
	v_add_f16_e32 v6, v39, v97
	v_add_f16_e32 v14, v33, v123
	ds_write2_b32 v190, v1, v0 offset0:28 offset1:35
	v_sub_f16_e32 v0, v87, v93
	v_add_f16_e32 v1, v96, v88
	ds_write2_b32 v190, v12, v15 offset0:14 offset1:21
	v_add_f16_e32 v12, v38, v98
	v_sub_f16_e32 v15, v123, v33
	v_sub_f16_e32 v33, v82, v34
	v_pack_b32_f16 v0, v0, v1
	v_sub_f16_e32 v1, v32, v100
	v_sub_f16_e32 v5, v37, v99
	;; [unrolled: 1-line block ×4, first 2 shown]
	ds_write_b32 v190, v0 offset:168
	v_add_f16_e32 v0, v32, v100
	v_add_f16_e32 v32, v34, v82
	v_add_f16_e32 v34, v12, v4
	v_add_f16_e32 v40, v15, v7
	v_sub_f16_e32 v41, v15, v7
	v_add_f16_e32 v37, v6, v0
	v_add_f16_e32 v42, v33, v13
	;; [unrolled: 1-line block ×3, first 2 shown]
	v_sub_f16_e32 v43, v33, v13
	v_sub_f16_e32 v15, v1, v15
	v_add_f16_e32 v37, v14, v37
	v_sub_f16_e32 v33, v5, v33
	v_add_f16_sdwa v38, v34, v2 dst_sel:DWORD dst_unused:UNUSED_PAD src0_sel:DWORD src1_sel:WORD_1
	v_add_f16_e32 v40, v40, v1
	v_add_f16_e32 v42, v42, v5
	;; [unrolled: 1-line block ×3, first 2 shown]
	v_mul_f16_e32 v41, 0x3846, v41
	v_lshlrev_b32_e32 v39, 16, v38
	v_fmac_f16_e32 v38, 0xbcab, v34
	v_sub_f16_e32 v34, v0, v14
	v_sub_f16_e32 v14, v14, v6
	v_mul_f16_e32 v43, 0x3846, v43
	v_or_b32_sdwa v39, v39, v2 dst_sel:DWORD dst_unused:UNUSED_PAD src0_sel:DWORD src1_sel:WORD_0
	v_fmac_f16_e32 v2, 0xbcab, v37
	v_sub_f16_e32 v37, v4, v32
	v_sub_f16_e32 v32, v32, v12
	;; [unrolled: 1-line block ×4, first 2 shown]
	v_mul_f16_e32 v34, 0x3a52, v34
	v_mul_f16_e32 v37, 0x3a52, v37
	v_sub_f16_e32 v0, v6, v0
	v_sub_f16_e32 v4, v12, v4
	v_mul_f16_e32 v6, 0x2b26, v14
	v_mul_f16_e32 v7, 0x2b26, v32
	v_fma_f16 v12, v1, 0xbb00, -v41
	v_mul_f16_e32 v1, 0x3b00, v1
	v_fma_f16 v13, v5, 0xbb00, -v43
	;; [unrolled: 2-line block ×3, first 2 shown]
	v_fma_f16 v0, v0, 0xb9e0, -v34
	v_fma_f16 v7, v4, 0x39e0, -v7
	;; [unrolled: 1-line block ×3, first 2 shown]
	v_fmac_f16_e32 v1, 0x3574, v15
	v_fmac_f16_e32 v5, 0x3574, v33
	v_add_f16_e32 v101, v93, v87
	v_sub_f16_e32 v102, v88, v96
	v_fmamk_f16 v44, v14, 0x2b26, v34
	v_add_f16_e32 v0, v0, v2
	v_add_f16_e32 v4, v4, v38
	v_fmac_f16_e32 v1, 0xb70e, v40
	v_fmac_f16_e32 v5, 0xb70e, v42
	v_pack_b32_f16 v101, v101, v102
	v_add_f16_e32 v44, v44, v2
	v_add_f16_e32 v6, v6, v2
	v_add_f16_e32 v2, v7, v38
	v_fmac_f16_e32 v12, 0xb70e, v40
	v_fmac_f16_e32 v13, 0xb70e, v42
	v_add_f16_e32 v7, v5, v0
	v_sub_f16_e32 v14, v4, v1
	ds_write2_b32 v190, v46, v101 offset1:7
	v_fmamk_f16 v45, v32, 0x2b26, v37
	v_fmamk_f16 v46, v33, 0xb574, v43
	;; [unrolled: 1-line block ×3, first 2 shown]
	v_pack_b32_f16 v7, v7, v14
	v_sub_f16_e32 v14, v6, v13
	v_add_f16_e32 v15, v12, v2
	v_add_f16_e32 v6, v13, v6
	v_sub_f16_e32 v2, v2, v12
	v_sub_f16_e32 v0, v0, v5
	v_add_f16_e32 v1, v1, v4
	v_add_f16_e32 v45, v45, v38
	v_fmac_f16_e32 v46, 0xb70e, v42
	v_fmac_f16_e32 v47, 0xb70e, v40
	v_pack_b32_f16 v2, v6, v2
	v_pack_b32_f16 v0, v0, v1
	v_pack_b32_f16 v14, v14, v15
	v_add_f16_e32 v5, v24, v95
	v_add_f16_e32 v1, v47, v45
	v_sub_f16_e32 v6, v24, v95
	ds_write2_b32 v189, v2, v0 offset0:28 offset1:35
	v_sub_f16_e32 v0, v44, v46
	ds_write2_b32 v189, v7, v14 offset0:14 offset1:21
	v_add_f16_e32 v2, v28, v94
	v_add_f16_e32 v7, v26, v84
	;; [unrolled: 1-line block ×3, first 2 shown]
	v_pack_b32_f16 v0, v0, v1
	v_add_f16_e32 v13, v29, v25
	v_sub_f16_e32 v14, v25, v29
	v_add_f16_e32 v24, v7, v2
	v_sub_f16_e32 v12, v26, v84
	ds_write_b32 v189, v0 offset:168
	v_add_f16_e32 v0, v30, v83
	v_sub_f16_e32 v23, v23, v27
	v_add_f16_e32 v24, v15, v24
	v_sub_f16_e32 v1, v30, v83
	v_sub_f16_e32 v4, v28, v94
	v_add_f16_e32 v25, v5, v0
	v_add_f16_e32 v28, v14, v6
	v_add_f16_sdwa v26, v24, v3 dst_sel:DWORD dst_unused:UNUSED_PAD src0_sel:DWORD src1_sel:WORD_1
	v_sub_f16_e32 v29, v14, v6
	v_add_f16_e32 v30, v23, v12
	v_add_f16_e32 v25, v13, v25
	v_sub_f16_e32 v32, v23, v12
	v_lshlrev_b32_e32 v27, 16, v26
	v_fmac_f16_e32 v26, 0xbcab, v24
	v_sub_f16_e32 v24, v0, v13
	v_add_f16_e32 v3, v25, v3
	v_sub_f16_e32 v13, v13, v5
	v_sub_f16_e32 v14, v1, v14
	;; [unrolled: 1-line block ×3, first 2 shown]
	v_add_f16_e32 v28, v28, v1
	v_or_b32_sdwa v27, v27, v3 dst_sel:DWORD dst_unused:UNUSED_PAD src0_sel:DWORD src1_sel:WORD_0
	v_fmac_f16_e32 v3, 0xbcab, v25
	v_sub_f16_e32 v25, v2, v15
	v_sub_f16_e32 v15, v15, v7
	v_add_f16_e32 v30, v30, v4
	v_mul_f16_e32 v29, 0x3846, v29
	v_mul_f16_e32 v32, 0x3846, v32
	v_sub_f16_e32 v1, v6, v1
	v_sub_f16_e32 v4, v12, v4
	v_mul_f16_e32 v24, 0x3a52, v24
	v_mul_f16_e32 v25, 0x3a52, v25
	v_sub_f16_e32 v0, v5, v0
	v_sub_f16_e32 v2, v7, v2
	v_mul_f16_e32 v5, 0x2b26, v13
	v_mul_f16_e32 v6, 0x2b26, v15
	v_fma_f16 v7, v1, 0xbb00, -v29
	v_mul_f16_e32 v1, 0x3b00, v1
	v_fma_f16 v12, v4, 0xbb00, -v32
	;; [unrolled: 2-line block ×3, first 2 shown]
	v_fma_f16 v0, v0, 0xb9e0, -v24
	v_fma_f16 v6, v2, 0x39e0, -v6
	v_fma_f16 v2, v2, 0xb9e0, -v25
	v_fmac_f16_e32 v1, 0x3574, v14
	v_fmac_f16_e32 v4, 0x3574, v23
	v_fmamk_f16 v33, v13, 0x2b26, v24
	v_add_f16_e32 v0, v0, v3
	v_add_f16_e32 v2, v2, v26
	v_fmac_f16_e32 v1, 0xb70e, v28
	v_fmac_f16_e32 v4, 0xb70e, v30
	v_add_f16_e32 v33, v33, v3
	v_add_f16_e32 v5, v5, v3
	;; [unrolled: 1-line block ×3, first 2 shown]
	v_fmac_f16_e32 v7, 0xb70e, v28
	v_fmac_f16_e32 v12, 0xb70e, v30
	v_add_f16_e32 v6, v4, v0
	v_sub_f16_e32 v13, v2, v1
	v_add_f16_e32 v80, v46, v44
	v_sub_f16_e32 v82, v45, v47
	v_fmamk_f16 v34, v15, 0x2b26, v25
	v_fmamk_f16 v37, v23, 0xb574, v32
	;; [unrolled: 1-line block ×3, first 2 shown]
	v_pack_b32_f16 v6, v6, v13
	v_sub_f16_e32 v13, v5, v12
	v_add_f16_e32 v14, v7, v3
	v_add_f16_e32 v5, v12, v5
	v_sub_f16_e32 v3, v3, v7
	v_sub_f16_e32 v0, v0, v4
	v_add_f16_e32 v1, v1, v2
	v_pack_b32_f16 v80, v80, v82
	v_add_f16_e32 v34, v34, v26
	v_fmac_f16_e32 v37, 0xb70e, v30
	v_fmac_f16_e32 v38, 0xb70e, v28
	v_pack_b32_f16 v2, v5, v3
	v_pack_b32_f16 v0, v0, v1
	ds_write2_b32 v189, v39, v80 offset1:7
	v_pack_b32_f16 v13, v13, v14
	v_add_f16_e32 v1, v38, v34
	v_add_f16_e32 v4, v136, v11
	ds_write2_b32 v216, v2, v0 offset0:28 offset1:35
	v_sub_f16_e32 v0, v33, v37
	ds_write2_b32 v216, v6, v13 offset0:14 offset1:21
	v_add_f16_e32 v2, v21, v36
	v_add_f16_e32 v6, v9, v31
	;; [unrolled: 1-line block ×3, first 2 shown]
	v_pack_b32_f16 v0, v0, v1
	v_sub_f16_e32 v8, v10, v8
	v_sub_f16_e32 v7, v9, v31
	v_add_f16_e32 v10, v6, v2
	v_add_f16_e32 v9, v20, v22
	ds_write_b32 v216, v0 offset:168
	v_add_f16_e32 v0, v249, v35
	v_sub_f16_e32 v5, v136, v11
	v_add_f16_e32 v10, v12, v10
	v_sub_f16_e32 v11, v22, v20
	v_sub_f16_e32 v1, v249, v35
	v_add_f16_e32 v13, v4, v0
	v_sub_f16_e32 v3, v21, v36
	v_add_f16_sdwa v14, v10, v81 dst_sel:DWORD dst_unused:UNUSED_PAD src0_sel:DWORD src1_sel:WORD_1
	v_add_f16_e32 v21, v11, v5
	v_sub_f16_e32 v22, v11, v5
	v_add_f16_e32 v13, v9, v13
	v_add_f16_e32 v23, v8, v7
	v_lshlrev_b32_e32 v20, 16, v14
	v_sub_f16_e32 v24, v8, v7
	v_fmac_f16_e32 v14, 0xbcab, v10
	v_add_f16_e32 v15, v13, v81
	v_sub_f16_e32 v10, v0, v9
	v_sub_f16_e32 v9, v9, v4
	v_sub_f16_e32 v11, v1, v11
	v_sub_f16_e32 v8, v3, v8
	v_or_b32_sdwa v20, v20, v15 dst_sel:DWORD dst_unused:UNUSED_PAD src0_sel:DWORD src1_sel:WORD_0
	v_fmac_f16_e32 v15, 0xbcab, v13
	v_sub_f16_e32 v13, v2, v12
	v_sub_f16_e32 v12, v12, v6
	v_add_f16_e32 v21, v21, v1
	v_add_f16_e32 v23, v23, v3
	v_mul_f16_e32 v22, 0x3846, v22
	v_mul_f16_e32 v24, 0x3846, v24
	v_sub_f16_e32 v1, v5, v1
	v_sub_f16_e32 v3, v7, v3
	v_mul_f16_e32 v10, 0x3a52, v10
	v_mul_f16_e32 v13, 0x3a52, v13
	v_sub_f16_e32 v0, v4, v0
	v_sub_f16_e32 v2, v6, v2
	v_mul_f16_e32 v4, 0x2b26, v9
	v_mul_f16_e32 v5, 0x2b26, v12
	v_fma_f16 v6, v1, 0xbb00, -v22
	v_mul_f16_e32 v1, 0x3b00, v1
	v_fma_f16 v7, v3, 0xbb00, -v24
	v_mul_f16_e32 v3, 0x3b00, v3
	v_add_f16_e32 v39, v37, v33
	v_sub_f16_e32 v40, v34, v38
	v_fma_f16 v4, v0, 0x39e0, -v4
	v_fma_f16 v0, v0, 0xb9e0, -v10
	;; [unrolled: 1-line block ×4, first 2 shown]
	v_fmac_f16_e32 v1, 0x3574, v11
	v_fmac_f16_e32 v3, 0x3574, v8
	v_pack_b32_f16 v39, v39, v40
	v_add_f16_e32 v0, v0, v15
	v_add_f16_e32 v2, v2, v14
	v_fmac_f16_e32 v1, 0xb70e, v21
	v_fmac_f16_e32 v3, 0xb70e, v23
	ds_write2_b32 v216, v27, v39 offset1:7
	v_fmamk_f16 v25, v9, 0x2b26, v10
	v_fmamk_f16 v27, v8, 0xb574, v24
	v_add_f16_e32 v4, v4, v15
	v_add_f16_e32 v5, v5, v14
	v_fmac_f16_e32 v6, 0xb70e, v21
	v_fmac_f16_e32 v7, 0xb70e, v23
	v_add_f16_e32 v8, v3, v0
	v_sub_f16_e32 v9, v2, v1
	v_fmamk_f16 v26, v12, 0x2b26, v13
	v_fmamk_f16 v28, v11, 0xb574, v22
	v_add_f16_e32 v10, v6, v5
	v_sub_f16_e32 v5, v5, v6
	v_pack_b32_f16 v8, v8, v9
	v_sub_f16_e32 v9, v4, v7
	v_add_f16_e32 v4, v7, v4
	v_sub_f16_e32 v0, v0, v3
	v_add_f16_e32 v1, v1, v2
	v_add_f16_e32 v25, v25, v15
	;; [unrolled: 1-line block ×3, first 2 shown]
	v_fmac_f16_e32 v27, 0xb70e, v23
	v_fmac_f16_e32 v28, 0xb70e, v21
	v_pack_b32_f16 v2, v4, v5
	v_pack_b32_f16 v0, v0, v1
	;; [unrolled: 1-line block ×3, first 2 shown]
	v_add_f16_e32 v29, v27, v25
	v_sub_f16_e32 v30, v26, v28
	v_add_f16_e32 v1, v28, v26
	ds_write2_b32 v217, v2, v0 offset0:28 offset1:35
	v_sub_f16_e32 v0, v25, v27
	ds_write2_b32 v217, v8, v9 offset0:14 offset1:21
	v_pack_b32_f16 v29, v29, v30
	v_pack_b32_f16 v0, v0, v1
	ds_write2_b32 v217, v20, v29 offset1:7
	ds_write_b32 v217, v0 offset:168
	s_waitcnt lgkmcnt(0)
	s_barrier
	buffer_gl0_inv
	ds_read2_b32 v[0:1], v187 offset0:174 offset1:223
	s_waitcnt lgkmcnt(0)
	v_lshrrev_b32_e32 v2, 16, v0
	v_lshrrev_b32_e32 v3, 16, v1
	v_mul_f16_sdwa v4, v17, v0 dst_sel:DWORD dst_unused:UNUSED_PAD src0_sel:WORD_1 src1_sel:DWORD
	v_mul_f16_sdwa v5, v17, v1 dst_sel:DWORD dst_unused:UNUSED_PAD src0_sel:WORD_1 src1_sel:DWORD
	;; [unrolled: 1-line block ×4, first 2 shown]
	v_fma_f16 v129, v17, v2, -v4
	v_fma_f16 v99, v17, v3, -v5
	v_fmac_f16_e32 v80, v17, v0
	v_fmac_f16_e32 v93, v17, v1
	ds_read2_b32 v[0:1], v184 offset0:92 offset1:141
	s_waitcnt lgkmcnt(0)
	v_lshrrev_b32_e32 v6, 16, v0
	v_lshrrev_b32_e32 v7, 16, v1
	v_mul_f16_sdwa v128, v19, v6 dst_sel:DWORD dst_unused:UNUSED_PAD src0_sel:WORD_1 src1_sel:DWORD
	v_mul_f16_sdwa v97, v19, v7 dst_sel:DWORD dst_unused:UNUSED_PAD src0_sel:WORD_1 src1_sel:DWORD
	v_fmac_f16_e32 v128, v19, v0
	v_fmac_f16_e32 v97, v19, v1
	v_mul_f16_sdwa v0, v19, v0 dst_sel:DWORD dst_unused:UNUSED_PAD src0_sel:WORD_1 src1_sel:DWORD
	v_mul_f16_sdwa v1, v19, v1 dst_sel:DWORD dst_unused:UNUSED_PAD src0_sel:WORD_1 src1_sel:DWORD
	v_fma_f16 v130, v19, v6, -v0
	v_fma_f16 v98, v19, v7, -v1
	ds_read2_b32 v[0:1], v193 offset0:38 offset1:87
	s_waitcnt lgkmcnt(0)
	v_lshrrev_b32_e32 v2, 16, v1
	v_mul_f16_sdwa v3, v16, v1 dst_sel:DWORD dst_unused:UNUSED_PAD src0_sel:WORD_1 src1_sel:DWORD
	v_mul_f16_sdwa v13, v16, v2 dst_sel:DWORD dst_unused:UNUSED_PAD src0_sel:WORD_1 src1_sel:DWORD
	v_fma_f16 v14, v16, v2, -v3
	ds_read2_b32 v[2:3], v222 offset0:84 offset1:133
	v_fmac_f16_e32 v13, v16, v1
	s_waitcnt lgkmcnt(0)
	v_lshrrev_b32_e32 v4, 16, v3
	v_mul_f16_sdwa v5, v18, v3 dst_sel:DWORD dst_unused:UNUSED_PAD src0_sel:WORD_1 src1_sel:DWORD
	v_mul_f16_sdwa v133, v18, v4 dst_sel:DWORD dst_unused:UNUSED_PAD src0_sel:WORD_1 src1_sel:DWORD
	v_fma_f16 v131, v18, v4, -v5
	ds_read2_b32 v[4:5], v193 offset0:136 offset1:185
	v_fmac_f16_e32 v133, v18, v3
	s_waitcnt lgkmcnt(0)
	v_lshrrev_b32_e32 v6, 16, v4
	v_mul_f16_sdwa v7, v16, v4 dst_sel:DWORD dst_unused:UNUSED_PAD src0_sel:WORD_1 src1_sel:DWORD
	v_lshrrev_b32_e32 v1, 16, v5
	v_mul_f16_sdwa v3, v56, v5 dst_sel:DWORD dst_unused:UNUSED_PAD src0_sel:WORD_1 src1_sel:DWORD
	v_mul_f16_sdwa v102, v16, v6 dst_sel:DWORD dst_unused:UNUSED_PAD src0_sel:WORD_1 src1_sel:DWORD
	v_fma_f16 v100, v16, v6, -v7
	ds_read2_b32 v[6:7], v183 offset0:54 offset1:103
	v_mul_f16_sdwa v82, v56, v1 dst_sel:DWORD dst_unused:UNUSED_PAD src0_sel:WORD_1 src1_sel:DWORD
	v_fma_f16 v85, v56, v1, -v3
	v_fmac_f16_e32 v102, v16, v4
	v_fmac_f16_e32 v82, v56, v5
	s_waitcnt lgkmcnt(0)
	v_lshrrev_b32_e32 v4, 16, v7
	v_mul_f16_sdwa v5, v58, v7 dst_sel:DWORD dst_unused:UNUSED_PAD src0_sel:WORD_1 src1_sel:DWORD
	v_lshrrev_b32_e32 v8, 16, v6
	v_mul_f16_sdwa v9, v18, v6 dst_sel:DWORD dst_unused:UNUSED_PAD src0_sel:WORD_1 src1_sel:DWORD
	v_mul_f16_sdwa v83, v58, v4 dst_sel:DWORD dst_unused:UNUSED_PAD src0_sel:WORD_1 src1_sel:DWORD
	v_fma_f16 v84, v58, v4, -v5
	ds_read2_b32 v[3:4], v186 offset0:16 offset1:65
	v_mul_f16_sdwa v123, v18, v8 dst_sel:DWORD dst_unused:UNUSED_PAD src0_sel:WORD_1 src1_sel:DWORD
	v_fma_f16 v101, v18, v8, -v9
	v_fmac_f16_e32 v83, v58, v7
	v_fmac_f16_e32 v123, v18, v6
	s_waitcnt lgkmcnt(0)
	v_lshrrev_b32_e32 v1, 16, v3
	v_mul_f16_sdwa v5, v57, v3 dst_sel:DWORD dst_unused:UNUSED_PAD src0_sel:WORD_1 src1_sel:DWORD
	v_mul_f16_sdwa v94, v57, v1 dst_sel:DWORD dst_unused:UNUSED_PAD src0_sel:WORD_1 src1_sel:DWORD
	v_fma_f16 v86, v57, v1, -v5
	ds_read2_b32 v[5:6], v184 offset0:190 offset1:239
	v_fmac_f16_e32 v94, v57, v3
	v_mul_f16_sdwa v3, v53, v4 dst_sel:DWORD dst_unused:UNUSED_PAD src0_sel:WORD_1 src1_sel:DWORD
	s_waitcnt lgkmcnt(0)
	v_lshrrev_b32_e32 v1, 16, v5
	v_mul_f16_sdwa v7, v59, v5 dst_sel:DWORD dst_unused:UNUSED_PAD src0_sel:WORD_1 src1_sel:DWORD
	v_mul_f16_sdwa v96, v59, v1 dst_sel:DWORD dst_unused:UNUSED_PAD src0_sel:WORD_1 src1_sel:DWORD
	v_fma_f16 v95, v59, v1, -v7
	v_lshrrev_b32_e32 v1, 16, v4
	v_fmac_f16_e32 v96, v59, v5
	v_mul_f16_sdwa v5, v55, v6 dst_sel:DWORD dst_unused:UNUSED_PAD src0_sel:WORD_1 src1_sel:DWORD
	v_mul_f16_sdwa v39, v53, v1 dst_sel:DWORD dst_unused:UNUSED_PAD src0_sel:WORD_1 src1_sel:DWORD
	v_fma_f16 v57, v53, v1, -v3
	v_fmac_f16_e32 v39, v53, v4
	v_lshrrev_b32_e32 v4, 16, v6
	v_mul_f16_sdwa v56, v55, v4 dst_sel:DWORD dst_unused:UNUSED_PAD src0_sel:WORD_1 src1_sel:DWORD
	v_fma_f16 v53, v55, v4, -v5
	ds_read2_b32 v[3:4], v191 offset0:106 offset1:155
	v_fmac_f16_e32 v56, v55, v6
	s_waitcnt lgkmcnt(0)
	v_lshrrev_b32_e32 v1, 16, v3
	v_mul_f16_sdwa v5, v52, v3 dst_sel:DWORD dst_unused:UNUSED_PAD src0_sel:WORD_1 src1_sel:DWORD
	v_mul_f16_sdwa v81, v52, v1 dst_sel:DWORD dst_unused:UNUSED_PAD src0_sel:WORD_1 src1_sel:DWORD
	v_fma_f16 v58, v52, v1, -v5
	ds_read2_b32 v[5:6], v183 offset0:152 offset1:201
	v_fmac_f16_e32 v81, v52, v3
	v_mul_f16_sdwa v3, v48, v4 dst_sel:DWORD dst_unused:UNUSED_PAD src0_sel:WORD_1 src1_sel:DWORD
	s_waitcnt lgkmcnt(0)
	v_lshrrev_b32_e32 v1, 16, v5
	v_mul_f16_sdwa v7, v54, v5 dst_sel:DWORD dst_unused:UNUSED_PAD src0_sel:WORD_1 src1_sel:DWORD
	v_mul_f16_sdwa v59, v54, v1 dst_sel:DWORD dst_unused:UNUSED_PAD src0_sel:WORD_1 src1_sel:DWORD
	v_fma_f16 v55, v54, v1, -v7
	v_lshrrev_b32_e32 v1, 16, v4
	v_fmac_f16_e32 v59, v54, v5
	v_mul_f16_sdwa v5, v50, v6 dst_sel:DWORD dst_unused:UNUSED_PAD src0_sel:WORD_1 src1_sel:DWORD
	v_mul_f16_sdwa v31, v48, v1 dst_sel:DWORD dst_unused:UNUSED_PAD src0_sel:WORD_1 src1_sel:DWORD
	v_fma_f16 v34, v48, v1, -v3
	v_fmac_f16_e32 v31, v48, v4
	v_lshrrev_b32_e32 v4, 16, v6
	v_mul_f16_sdwa v32, v50, v4 dst_sel:DWORD dst_unused:UNUSED_PAD src0_sel:WORD_1 src1_sel:DWORD
	v_fma_f16 v33, v50, v4, -v5
	ds_read2_b32 v[3:4], v186 offset0:114 offset1:163
	;; [unrolled: 24-line block ×3, first 2 shown]
	v_fmac_f16_e32 v24, v92, v6
	s_waitcnt lgkmcnt(0)
	v_lshrrev_b32_e32 v1, 16, v3
	v_mul_f16_sdwa v5, v89, v3 dst_sel:DWORD dst_unused:UNUSED_PAD src0_sel:WORD_1 src1_sel:DWORD
	v_mul_f16_sdwa v30, v89, v1 dst_sel:DWORD dst_unused:UNUSED_PAD src0_sel:WORD_1 src1_sel:DWORD
	v_fma_f16 v28, v89, v1, -v5
	ds_read2_b32 v[5:6], v181 offset0:122 offset1:171
	v_fmac_f16_e32 v30, v89, v3
	s_waitcnt lgkmcnt(0)
	v_lshrrev_b32_e32 v1, 16, v5
	v_mul_f16_sdwa v7, v91, v5 dst_sel:DWORD dst_unused:UNUSED_PAD src0_sel:WORD_1 src1_sel:DWORD
	v_mul_f16_sdwa v29, v91, v1 dst_sel:DWORD dst_unused:UNUSED_PAD src0_sel:WORD_1 src1_sel:DWORD
	v_fma_f16 v27, v91, v1, -v7
	v_lshrrev_b32_e32 v1, 16, v4
	v_lshrrev_b32_e32 v7, 16, v6
	v_fmac_f16_e32 v29, v91, v5
	v_lshrrev_b32_e32 v5, 16, v2
	v_mul_f16_sdwa v3, v103, v1 dst_sel:DWORD dst_unused:UNUSED_PAD src0_sel:WORD_1 src1_sel:DWORD
	v_mul_f16_sdwa v9, v105, v7 dst_sel:DWORD dst_unused:UNUSED_PAD src0_sel:WORD_1 src1_sel:DWORD
	;; [unrolled: 1-line block ×3, first 2 shown]
	v_fmac_f16_e32 v3, v103, v4
	v_mul_f16_sdwa v4, v103, v4 dst_sel:DWORD dst_unused:UNUSED_PAD src0_sel:WORD_1 src1_sel:DWORD
	v_fmac_f16_e32 v9, v105, v6
	v_mul_f16_sdwa v6, v105, v6 dst_sel:DWORD dst_unused:UNUSED_PAD src0_sel:WORD_1 src1_sel:DWORD
	;; [unrolled: 2-line block ×3, first 2 shown]
	v_fma_f16 v16, v103, v1, -v4
	v_fma_f16 v10, v105, v7, -v6
	;; [unrolled: 1-line block ×3, first 2 shown]
	ds_read2_b32 v[1:2], v192 offset0:130 offset1:179
	s_waitcnt lgkmcnt(0)
	v_lshrrev_b32_e32 v4, 16, v1
	v_mul_f16_sdwa v5, v106, v1 dst_sel:DWORD dst_unused:UNUSED_PAD src0_sel:WORD_1 src1_sel:DWORD
	v_mul_f16_sdwa v6, v169, v2 dst_sel:DWORD dst_unused:UNUSED_PAD src0_sel:WORD_1 src1_sel:DWORD
	v_mul_f16_sdwa v18, v106, v4 dst_sel:DWORD dst_unused:UNUSED_PAD src0_sel:WORD_1 src1_sel:DWORD
	v_fma_f16 v17, v106, v4, -v5
	v_lshrrev_b32_e32 v4, 16, v2
	v_fmac_f16_e32 v18, v106, v1
	v_mul_f16_sdwa v5, v169, v4 dst_sel:DWORD dst_unused:UNUSED_PAD src0_sel:WORD_1 src1_sel:DWORD
	v_fma_f16 v4, v169, v4, -v6
	v_fmac_f16_e32 v5, v169, v2
	ds_read2_b32 v[1:2], v182 offset0:10 offset1:59
	v_add_f16_e32 v92, v129, v4
	v_sub_f16_e32 v91, v129, v4
	v_add_f16_e32 v4, v133, v128
	v_add_f16_e32 v87, v80, v5
	v_sub_f16_e32 v88, v80, v5
	v_sub_f16_e32 v5, v128, v133
	;; [unrolled: 1-line block ×3, first 2 shown]
	s_waitcnt lgkmcnt(0)
	v_lshrrev_b32_e32 v7, 16, v1
	v_lshrrev_b32_e32 v12, 16, v2
	v_mul_f16_sdwa v15, v170, v7 dst_sel:DWORD dst_unused:UNUSED_PAD src0_sel:WORD_1 src1_sel:DWORD
	v_mul_f16_sdwa v124, v170, v12 dst_sel:DWORD dst_unused:UNUSED_PAD src0_sel:WORD_1 src1_sel:DWORD
	v_fmac_f16_e32 v15, v170, v1
	v_fmac_f16_e32 v124, v170, v2
	v_mul_f16_sdwa v1, v170, v1 dst_sel:DWORD dst_unused:UNUSED_PAD src0_sel:WORD_1 src1_sel:DWORD
	v_mul_f16_sdwa v2, v170, v2 dst_sel:DWORD dst_unused:UNUSED_PAD src0_sel:WORD_1 src1_sel:DWORD
	v_fma_f16 v6, v170, v7, -v1
	v_fma_f16 v125, v170, v12, -v2
	ds_read2_b32 v[1:2], v185 offset0:100 offset1:149
	s_waitcnt lgkmcnt(0)
	v_lshrrev_b32_e32 v7, 16, v1
	v_mul_f16_sdwa v12, v169, v1 dst_sel:DWORD dst_unused:UNUSED_PAD src0_sel:WORD_1 src1_sel:DWORD
	v_mul_f16_sdwa v127, v169, v7 dst_sel:DWORD dst_unused:UNUSED_PAD src0_sel:WORD_1 src1_sel:DWORD
	v_fma_f16 v126, v169, v7, -v12
	v_fmac_f16_e32 v127, v169, v1
	v_lshrrev_b32_e32 v1, 16, v2
	v_mul_f16_sdwa v52, v111, v1 dst_sel:DWORD dst_unused:UNUSED_PAD src0_sel:WORD_1 src1_sel:DWORD
	v_fmac_f16_e32 v52, v111, v2
	v_mul_f16_sdwa v2, v111, v2 dst_sel:DWORD dst_unused:UNUSED_PAD src0_sel:WORD_1 src1_sel:DWORD
	v_fma_f16 v54, v111, v1, -v2
	ds_read2_b32 v[1:2], v182 offset0:108 offset1:157
	s_waitcnt lgkmcnt(0)
	v_lshrrev_b32_e32 v7, 16, v1
	v_mul_f16_sdwa v12, v112, v1 dst_sel:DWORD dst_unused:UNUSED_PAD src0_sel:WORD_1 src1_sel:DWORD
	v_mul_f16_sdwa v90, v112, v7 dst_sel:DWORD dst_unused:UNUSED_PAD src0_sel:WORD_1 src1_sel:DWORD
	v_fma_f16 v89, v112, v7, -v12
	v_fmac_f16_e32 v90, v112, v1
	v_lshrrev_b32_e32 v1, 16, v2
	v_mul_f16_sdwa v48, v160, v1 dst_sel:DWORD dst_unused:UNUSED_PAD src0_sel:WORD_1 src1_sel:DWORD
	v_fmac_f16_e32 v48, v160, v2
	v_mul_f16_sdwa v2, v160, v2 dst_sel:DWORD dst_unused:UNUSED_PAD src0_sel:WORD_1 src1_sel:DWORD
	;; [unrolled: 12-line block ×4, first 2 shown]
	v_fma_f16 v42, v162, v1, -v2
	ds_read2_b32 v[1:2], v188 offset0:168 offset1:217
	s_waitcnt lgkmcnt(0)
	v_lshrrev_b32_e32 v7, 16, v1
	v_mul_f16_sdwa v12, v161, v1 dst_sel:DWORD dst_unused:UNUSED_PAD src0_sel:WORD_1 src1_sel:DWORD
	v_mul_f16_sdwa v43, v161, v7 dst_sel:DWORD dst_unused:UNUSED_PAD src0_sel:WORD_1 src1_sel:DWORD
	v_fma_f16 v41, v161, v7, -v12
	v_add_f16_e32 v12, v13, v15
	v_sub_f16_e32 v13, v13, v15
	v_add_f16_e32 v15, v14, v6
	v_fmac_f16_e32 v43, v161, v1
	v_lshrrev_b32_e32 v1, 16, v2
	v_sub_f16_e32 v14, v14, v6
	v_add_f16_e32 v6, v131, v130
	v_sub_f16_e32 v7, v130, v131
	v_sub_f16_e32 v198, v13, v5
	v_mul_f16_sdwa v19, v163, v1 dst_sel:DWORD dst_unused:UNUSED_PAD src0_sel:WORD_1 src1_sel:DWORD
	v_sub_f16_e32 v200, v6, v92
	v_sub_f16_e32 v199, v14, v7
	v_fmac_f16_e32 v19, v163, v2
	v_mul_f16_sdwa v2, v163, v2 dst_sel:DWORD dst_unused:UNUSED_PAD src0_sel:WORD_1 src1_sel:DWORD
	v_fma_f16 v20, v163, v1, -v2
	ds_read_b32 v1, v132 offset:9408
	s_waitcnt lgkmcnt(0)
	v_lshrrev_b32_e32 v2, 16, v1
	v_mul_f16_sdwa v21, v164, v2 dst_sel:DWORD dst_unused:UNUSED_PAD src0_sel:WORD_1 src1_sel:DWORD
	v_fmac_f16_e32 v21, v164, v1
	v_mul_f16_sdwa v1, v164, v1 dst_sel:DWORD dst_unused:UNUSED_PAD src0_sel:WORD_1 src1_sel:DWORD
	v_fma_f16 v22, v164, v2, -v1
	v_add_f16_e32 v1, v87, v12
	v_add_f16_e32 v80, v4, v1
	;; [unrolled: 1-line block ×4, first 2 shown]
	ds_read2_b32 v[1:2], v132 offset1:49
	s_waitcnt lgkmcnt(0)
	v_add_f16_sdwa v111, v103, v1 dst_sel:DWORD dst_unused:UNUSED_PAD src0_sel:DWORD src1_sel:WORD_1
	v_add_f16_e32 v1, v80, v1
	v_lshlrev_b32_e32 v104, 16, v111
	v_fmac_f16_e32 v111, 0xbcab, v103
	v_sub_f16_e32 v103, v5, v88
	v_or_b32_sdwa v112, v104, v1 dst_sel:DWORD dst_unused:UNUSED_PAD src0_sel:DWORD src1_sel:WORD_0
	v_fmac_f16_e32 v1, 0xbcab, v80
	v_sub_f16_e32 v80, v12, v4
	v_sub_f16_e32 v4, v15, v6
	;; [unrolled: 1-line block ×3, first 2 shown]
	v_add_f16_e32 v6, v5, v88
	v_add_f16_e32 v5, v7, v91
	v_mul_f16_e32 v135, 0x3a52, v80
	v_mul_f16_e32 v133, 0x3a52, v4
	;; [unrolled: 1-line block ×4, first 2 shown]
	v_add_f16_e32 v128, v6, v13
	v_fmamk_f16 v4, v201, 0x2b26, v135
	v_add_f16_e32 v129, v5, v14
	v_fmamk_f16 v204, v198, 0xb574, v134
	v_fmamk_f16 v80, v199, 0xb574, v202
	v_sub_f16_e32 v13, v88, v13
	v_add_f16_e32 v130, v4, v1
	v_fmamk_f16 v4, v200, 0x2b26, v133
	v_sub_f16_e32 v14, v91, v14
	v_fmac_f16_e32 v80, 0xb70e, v129
	v_fmac_f16_e32 v204, 0xb70e, v128
	v_sub_f16_e32 v12, v87, v12
	v_add_f16_e32 v131, v4, v111
	v_sub_f16_e32 v15, v92, v15
	v_mul_f16_e32 v87, 0x2b26, v201
	v_mul_f16_e32 v88, 0x2b26, v200
	v_fma_f16 v91, v13, 0xbb00, -v134
	v_mul_f16_e32 v13, 0x3b00, v13
	v_fma_f16 v92, v14, 0xbb00, -v202
	v_mul_f16_e32 v14, 0x3b00, v14
	v_add_f16_e32 v136, v80, v130
	v_sub_f16_e32 v206, v131, v204
	v_fma_f16 v87, v12, 0x39e0, -v87
	v_fma_f16 v12, v12, 0xb9e0, -v135
	;; [unrolled: 1-line block ×4, first 2 shown]
	v_fmac_f16_e32 v13, 0x3574, v198
	v_fmac_f16_e32 v14, 0x3574, v199
	v_pack_b32_f16 v103, v136, v206
	v_add_f16_e32 v87, v87, v1
	v_add_f16_e32 v1, v12, v1
	;; [unrolled: 1-line block ×3, first 2 shown]
	v_fmac_f16_e32 v13, 0xb70e, v128
	v_fmac_f16_e32 v14, 0xb70e, v129
	ds_read2_b32 v[4:5], v132 offset0:98 offset1:147
	ds_read2_b32 v[6:7], v132 offset0:196 offset1:245
	s_waitcnt lgkmcnt(0)
	s_barrier
	buffer_gl0_inv
	ds_write2_b32 v132, v112, v103 offset1:49
	v_add_f16_e32 v12, v88, v111
	v_fmac_f16_e32 v91, 0xb70e, v128
	v_fmac_f16_e32 v92, 0xb70e, v129
	v_add_f16_e32 v88, v14, v1
	v_sub_f16_e32 v103, v15, v13
	v_sub_f16_e32 v1, v1, v14
	v_add_f16_e32 v104, v91, v12
	v_sub_f16_e32 v12, v12, v91
	v_add_f16_e32 v13, v13, v15
	v_pack_b32_f16 v88, v88, v103
	v_sub_f16_e32 v103, v87, v92
	v_add_f16_e32 v87, v92, v87
	v_add_f16_e32 v14, v99, v126
	v_pack_b32_f16 v1, v1, v13
	v_add_f16_e32 v13, v100, v125
	v_pack_b32_f16 v103, v103, v104
	v_pack_b32_f16 v12, v87, v12
	v_add_f16_e32 v15, v101, v98
	v_add_f16_e32 v87, v102, v124
	;; [unrolled: 1-line block ×3, first 2 shown]
	ds_write2_b32 v132, v88, v103 offset0:98 offset1:147
	ds_write2_b32 v132, v12, v1 offset0:196 offset1:245
	v_sub_f16_e32 v1, v130, v80
	v_add_f16_e32 v80, v14, v13
	v_add_f16_e32 v88, v93, v127
	;; [unrolled: 1-line block ×3, first 2 shown]
	v_sub_f16_e32 v93, v93, v127
	v_sub_f16_e32 v97, v97, v123
	v_add_f16_e32 v80, v15, v80
	v_add_f16_e32 v92, v88, v87
	v_pack_b32_f16 v1, v1, v12
	v_sub_f16_e32 v99, v99, v126
	v_sub_f16_e32 v98, v98, v101
	v_add_f16_sdwa v103, v80, v2 dst_sel:DWORD dst_unused:UNUSED_PAD src0_sel:DWORD src1_sel:WORD_1
	v_add_f16_e32 v92, v91, v92
	v_sub_f16_e32 v101, v97, v93
	v_lshlrev_b32_e32 v12, 16, v103
	v_add_f16_e32 v2, v92, v2
	v_fmac_f16_e32 v103, 0xbcab, v80
	v_mul_f16_e32 v80, 0x3846, v101
	v_or_b32_sdwa v12, v12, v2 dst_sel:DWORD dst_unused:UNUSED_PAD src0_sel:DWORD src1_sel:WORD_0
	v_fmac_f16_e32 v2, 0xbcab, v92
	ds_write2_b32 v193, v1, v12 offset0:38 offset1:87
	v_sub_f16_e32 v1, v102, v124
	v_sub_f16_e32 v12, v100, v125
	;; [unrolled: 1-line block ×8, first 2 shown]
	v_add_f16_e32 v15, v97, v93
	v_sub_f16_e32 v97, v1, v97
	v_sub_f16_e32 v93, v93, v1
	;; [unrolled: 1-line block ×3, first 2 shown]
	v_mul_f16_e32 v13, 0x3a52, v13
	v_add_f16_e32 v1, v15, v1
	v_add_f16_e32 v15, v98, v99
	v_sub_f16_e32 v98, v12, v98
	v_sub_f16_e32 v99, v99, v12
	v_mul_f16_e32 v92, 0x3b00, v93
	v_fmamk_f16 v104, v14, 0x2b26, v13
	v_add_f16_e32 v12, v15, v12
	v_mul_f16_e32 v15, 0x3a52, v87
	v_mul_f16_e32 v87, 0x3846, v102
	;; [unrolled: 1-line block ×4, first 2 shown]
	v_fmac_f16_e32 v92, 0x3574, v97
	v_fmamk_f16 v102, v88, 0x2b26, v15
	v_mul_f16_e32 v88, 0x2b26, v88
	v_fmamk_f16 v97, v97, 0xb574, v80
	v_fmac_f16_e32 v101, 0x3574, v98
	v_fmamk_f16 v98, v98, 0xb574, v87
	v_fma_f16 v15, v100, 0xb9e0, -v15
	v_fma_f16 v88, v100, 0x39e0, -v88
	v_fma_f16 v87, v99, 0xbb00, -v87
	v_fma_f16 v14, v91, 0x39e0, -v14
	v_fma_f16 v80, v93, 0xbb00, -v80
	v_add_f16_e32 v102, v102, v2
	v_fmac_f16_e32 v98, 0xb70e, v12
	v_add_f16_e32 v15, v15, v2
	v_fmac_f16_e32 v101, 0xb70e, v12
	;; [unrolled: 2-line block ×4, first 2 shown]
	v_fmac_f16_e32 v97, 0xb70e, v1
	v_fma_f16 v13, v91, 0xb9e0, -v13
	v_fmac_f16_e32 v92, 0xb70e, v1
	v_sub_f16_e32 v1, v2, v87
	v_add_f16_e32 v2, v87, v2
	v_add_f16_e32 v14, v80, v12
	v_sub_f16_e32 v12, v12, v80
	v_add_f16_e32 v104, v104, v103
	v_add_f16_e32 v13, v13, v103
	;; [unrolled: 1-line block ×3, first 2 shown]
	v_pack_b32_f16 v1, v1, v14
	v_pack_b32_f16 v2, v2, v12
	v_sub_f16_e32 v106, v104, v97
	v_sub_f16_e32 v111, v13, v92
	;; [unrolled: 1-line block ×3, first 2 shown]
	v_add_f16_e32 v14, v85, v89
	ds_write2_b32 v191, v1, v2 offset0:106 offset1:155
	v_sub_f16_e32 v1, v15, v101
	v_add_f16_e32 v2, v92, v13
	v_add_f16_e32 v13, v97, v104
	v_pack_b32_f16 v105, v105, v106
	v_add_f16_e32 v106, v101, v15
	v_sub_f16_e32 v15, v85, v89
	v_pack_b32_f16 v1, v1, v2
	v_pack_b32_f16 v2, v12, v13
	v_add_f16_e32 v85, v86, v54
	v_add_f16_e32 v12, v82, v90
	v_sub_f16_e32 v13, v82, v90
	v_add_f16_e32 v80, v94, v52
	ds_write2_b32 v187, v1, v2 offset0:76 offset1:125
	v_sub_f16_e32 v82, v94, v52
	v_add_f16_e32 v1, v83, v96
	v_sub_f16_e32 v2, v96, v83
	v_add_f16_e32 v52, v84, v95
	v_add_f16_e32 v83, v85, v14
	v_sub_f16_e32 v86, v86, v54
	v_sub_f16_e32 v54, v95, v84
	v_add_f16_e32 v84, v80, v12
	v_sub_f16_e32 v89, v52, v85
	v_add_f16_e32 v83, v52, v83
	v_sub_f16_e32 v90, v2, v82
	v_sub_f16_e32 v91, v13, v2
	v_add_f16_e32 v84, v1, v84
	v_sub_f16_e32 v92, v54, v86
	v_add_f16_sdwa v87, v83, v4 dst_sel:DWORD dst_unused:UNUSED_PAD src0_sel:DWORD src1_sel:WORD_1
	v_sub_f16_e32 v93, v15, v54
	v_mul_f16_e32 v90, 0x3846, v90
	v_add_f16_e32 v4, v84, v4
	v_mul_f16_e32 v92, 0x3846, v92
	v_lshlrev_b32_e32 v88, 16, v87
	v_fmac_f16_e32 v87, 0xbcab, v83
	v_sub_f16_e32 v83, v12, v1
	v_sub_f16_e32 v12, v80, v12
	v_pack_b32_f16 v106, v106, v111
	v_or_b32_sdwa v88, v88, v4 dst_sel:DWORD dst_unused:UNUSED_PAD src0_sel:DWORD src1_sel:WORD_0
	v_fmac_f16_e32 v4, 0xbcab, v84
	v_sub_f16_e32 v84, v1, v80
	v_sub_f16_e32 v1, v14, v52
	v_add_f16_e32 v52, v2, v82
	v_add_f16_e32 v2, v54, v86
	v_mul_f16_e32 v83, 0x3a52, v83
	v_mul_f16_e32 v80, 0x2b26, v84
	;; [unrolled: 1-line block ×3, first 2 shown]
	v_add_f16_e32 v94, v52, v13
	v_add_f16_e32 v95, v2, v15
	v_sub_f16_e32 v13, v82, v13
	v_sub_f16_e32 v15, v86, v15
	v_fmamk_f16 v1, v84, 0x2b26, v83
	v_sub_f16_e32 v14, v85, v14
	v_fma_f16 v80, v12, 0x39e0, -v80
	v_fma_f16 v12, v12, 0xb9e0, -v83
	v_mul_f16_e32 v82, 0x2b26, v89
	v_fma_f16 v83, v13, 0xbb00, -v90
	v_mul_f16_e32 v13, 0x3b00, v13
	;; [unrolled: 2-line block ×3, first 2 shown]
	v_fma_f16 v82, v14, 0x39e0, -v82
	v_fma_f16 v14, v14, 0xb9e0, -v96
	v_fmac_f16_e32 v13, 0x3574, v91
	v_add_f16_e32 v1, v1, v4
	v_fmac_f16_e32 v15, 0x3574, v93
	v_add_f16_e32 v80, v80, v4
	v_add_f16_e32 v4, v12, v4
	;; [unrolled: 1-line block ×3, first 2 shown]
	v_fmac_f16_e32 v13, 0xb70e, v94
	v_fmac_f16_e32 v15, 0xb70e, v95
	v_add_f16_e32 v12, v82, v87
	v_fmac_f16_e32 v83, 0xb70e, v94
	v_fmac_f16_e32 v84, 0xb70e, v95
	v_sub_f16_e32 v85, v14, v13
	v_add_f16_e32 v82, v15, v4
	v_sub_f16_e32 v4, v4, v15
	v_add_f16_e32 v86, v83, v12
	;; [unrolled: 2-line block ×3, first 2 shown]
	v_pack_b32_f16 v82, v82, v85
	v_sub_f16_e32 v85, v80, v84
	v_add_f16_e32 v80, v84, v80
	ds_write2_b32 v193, v105, v106 offset0:136 offset1:185
	v_pack_b32_f16 v4, v4, v13
	v_add_f16_e32 v13, v58, v50
	v_sub_f16_e32 v14, v58, v50
	v_pack_b32_f16 v12, v80, v12
	v_add_f16_e32 v15, v39, v51
	v_sub_f16_e32 v39, v39, v51
	v_add_f16_e32 v50, v59, v56
	v_sub_f16_e32 v51, v56, v59
	ds_write2_b32 v205, v12, v4 offset0:114 offset1:163
	v_add_f16_e32 v4, v81, v48
	v_sub_f16_e32 v12, v81, v48
	v_add_f16_e32 v48, v57, v49
	v_add_f16_e32 v56, v55, v53
	v_sub_f16_e32 v53, v53, v55
	v_sub_f16_e32 v49, v57, v49
	v_add_f16_e32 v57, v15, v4
	v_add_f16_e32 v55, v48, v13
	v_pack_b32_f16 v85, v85, v86
	v_add_f16_e32 v80, v51, v39
	v_sub_f16_e32 v81, v51, v39
	v_add_f16_e32 v57, v50, v57
	v_add_f16_e32 v55, v56, v55
	ds_write2_b32 v205, v82, v85 offset0:16 offset1:65
	v_add_f16_e32 v82, v53, v49
	v_sub_f16_e32 v83, v53, v49
	v_sub_f16_e32 v51, v12, v51
	v_add_f16_sdwa v58, v55, v5 dst_sel:DWORD dst_unused:UNUSED_PAD src0_sel:DWORD src1_sel:WORD_1
	v_add_f16_e32 v5, v57, v5
	v_sub_f16_e32 v53, v14, v53
	v_add_f16_e32 v80, v80, v12
	v_add_f16_e32 v82, v82, v14
	v_lshlrev_b32_e32 v59, 16, v58
	v_fmac_f16_e32 v58, 0xbcab, v55
	v_sub_f16_e32 v55, v4, v50
	v_sub_f16_e32 v50, v50, v15
	v_mul_f16_e32 v81, 0x3846, v81
	v_or_b32_sdwa v59, v59, v5 dst_sel:DWORD dst_unused:UNUSED_PAD src0_sel:DWORD src1_sel:WORD_0
	v_fmac_f16_e32 v5, 0xbcab, v57
	v_sub_f16_e32 v57, v13, v56
	v_sub_f16_e32 v56, v56, v48
	v_mul_f16_e32 v83, 0x3846, v83
	v_sub_f16_e32 v12, v39, v12
	v_sub_f16_e32 v14, v49, v14
	v_mul_f16_e32 v55, 0x3a52, v55
	v_mul_f16_e32 v57, 0x3a52, v57
	v_sub_f16_e32 v4, v15, v4
	v_sub_f16_e32 v13, v48, v13
	v_mul_f16_e32 v15, 0x2b26, v50
	v_mul_f16_e32 v39, 0x2b26, v56
	v_fma_f16 v48, v12, 0xbb00, -v81
	v_mul_f16_e32 v12, 0x3b00, v12
	v_fma_f16 v49, v14, 0xbb00, -v83
	;; [unrolled: 2-line block ×3, first 2 shown]
	v_fma_f16 v4, v4, 0xb9e0, -v55
	v_fma_f16 v39, v13, 0x39e0, -v39
	;; [unrolled: 1-line block ×3, first 2 shown]
	v_fmac_f16_e32 v12, 0x3574, v51
	v_fmac_f16_e32 v14, 0x3574, v53
	v_fmamk_f16 v84, v50, 0x2b26, v55
	v_add_f16_e32 v4, v4, v5
	v_add_f16_e32 v13, v13, v58
	v_fmac_f16_e32 v12, 0xb70e, v80
	v_fmac_f16_e32 v14, 0xb70e, v82
	v_fmamk_f16 v2, v89, 0x2b26, v96
	v_add_f16_e32 v84, v84, v5
	v_add_f16_e32 v15, v15, v5
	;; [unrolled: 1-line block ×3, first 2 shown]
	v_fmac_f16_e32 v48, 0xb70e, v80
	v_fmac_f16_e32 v49, 0xb70e, v82
	v_add_f16_e32 v39, v14, v4
	v_sub_f16_e32 v50, v13, v12
	v_add_f16_e32 v2, v2, v87
	v_fmamk_f16 v87, v51, 0xb574, v81
	v_add_f16_e32 v51, v48, v5
	v_sub_f16_e32 v5, v5, v48
	v_pack_b32_f16 v39, v39, v50
	v_sub_f16_e32 v50, v15, v49
	v_add_f16_e32 v15, v49, v15
	v_sub_f16_e32 v4, v4, v14
	v_add_f16_e32 v12, v12, v13
	v_add_f16_e32 v14, v36, v44
	v_pack_b32_f16 v50, v50, v51
	v_pack_b32_f16 v5, v15, v5
	v_sub_f16_e32 v15, v36, v44
	v_pack_b32_f16 v4, v4, v12
	v_add_f16_e32 v12, v34, v46
	v_add_f16_e32 v36, v33, v37
	v_sub_f16_e32 v33, v37, v33
	v_sub_f16_e32 v13, v34, v46
	ds_write2_b32 v223, v5, v4 offset0:201 offset1:250
	v_add_f16_e32 v4, v31, v47
	v_sub_f16_e32 v5, v31, v47
	v_add_f16_e32 v31, v35, v45
	v_sub_f16_e32 v34, v35, v45
	;; [unrolled: 2-line block ×3, first 2 shown]
	v_add_f16_e32 v38, v14, v4
	v_add_f16_e32 v37, v31, v12
	ds_write2_b32 v223, v39, v50 offset0:103 offset1:152
	v_add_f16_e32 v47, v33, v34
	v_add_f16_e32 v45, v32, v15
	;; [unrolled: 1-line block ×4, first 2 shown]
	v_sub_f16_e32 v46, v32, v15
	v_sub_f16_e32 v32, v5, v32
	;; [unrolled: 1-line block ×3, first 2 shown]
	v_add_f16_e32 v45, v45, v5
	v_add_f16_sdwa v39, v37, v6 dst_sel:DWORD dst_unused:UNUSED_PAD src0_sel:DWORD src1_sel:WORD_1
	v_add_f16_e32 v6, v38, v6
	v_mul_f16_e32 v46, 0x3846, v46
	v_sub_f16_e32 v5, v15, v5
	v_sub_f16_e32 v33, v13, v33
	v_lshlrev_b32_e32 v44, 16, v39
	v_fmac_f16_e32 v39, 0xbcab, v37
	v_sub_f16_e32 v37, v4, v35
	v_sub_f16_e32 v35, v35, v14
	v_add_f16_e32 v47, v47, v13
	v_or_b32_sdwa v44, v44, v6 dst_sel:DWORD dst_unused:UNUSED_PAD src0_sel:DWORD src1_sel:WORD_0
	v_fmac_f16_e32 v6, 0xbcab, v38
	v_sub_f16_e32 v38, v12, v36
	v_sub_f16_e32 v36, v36, v31
	v_mul_f16_e32 v48, 0x3846, v48
	v_sub_f16_e32 v12, v31, v12
	v_sub_f16_e32 v13, v34, v13
	v_fma_f16 v31, v5, 0xbb00, -v46
	v_mul_f16_e32 v5, 0x3b00, v5
	v_fmamk_f16 v86, v53, 0xb574, v83
	v_mul_f16_e32 v37, 0x3a52, v37
	v_mul_f16_e32 v38, 0x3a52, v38
	v_fmamk_f16 v53, v32, 0xb574, v46
	v_sub_f16_e32 v4, v14, v4
	v_mul_f16_e32 v14, 0x2b26, v35
	v_mul_f16_e32 v15, 0x2b26, v36
	v_fmac_f16_e32 v5, 0x3574, v32
	v_fma_f16 v32, v13, 0xbb00, -v48
	v_mul_f16_e32 v13, 0x3b00, v13
	v_fma_f16 v14, v4, 0x39e0, -v14
	v_fma_f16 v4, v4, 0xb9e0, -v37
	;; [unrolled: 1-line block ×4, first 2 shown]
	v_fmac_f16_e32 v13, 0x3574, v33
	v_fmamk_f16 v49, v35, 0x2b26, v37
	v_add_f16_e32 v4, v4, v6
	v_fmac_f16_e32 v5, 0xb70e, v45
	v_add_f16_e32 v12, v12, v39
	v_fmac_f16_e32 v13, 0xb70e, v47
	v_add_f16_e32 v49, v49, v6
	v_fmamk_f16 v51, v33, 0xb574, v48
	v_add_f16_e32 v14, v14, v6
	v_add_f16_e32 v6, v15, v39
	;; [unrolled: 1-line block ×3, first 2 shown]
	v_sub_f16_e32 v33, v12, v5
	v_sub_f16_e32 v4, v4, v13
	v_add_f16_e32 v5, v5, v12
	v_fmac_f16_e32 v31, 0xb70e, v45
	v_fmac_f16_e32 v32, 0xb70e, v47
	v_pack_b32_f16 v15, v15, v33
	v_sub_f16_e32 v12, v28, v42
	v_pack_b32_f16 v4, v4, v5
	buffer_load_dword v5, off, s[20:23], 0 offset:224 ; 4-byte Folded Reload
	v_sub_f16_e32 v33, v14, v32
	v_add_f16_e32 v34, v31, v6
	v_add_f16_e32 v14, v32, v14
	v_sub_f16_e32 v6, v6, v31
	v_add_f16_e32 v13, v23, v43
	v_fmamk_f16 v50, v36, 0x2b26, v38
	v_pack_b32_f16 v33, v33, v34
	v_fmamk_f16 v52, v93, 0xb574, v92
	v_pack_b32_f16 v6, v14, v6
	v_sub_f16_e32 v14, v23, v43
	v_sub_f16_e32 v23, v26, v41
	ds_write2_b32 v203, v15, v33 offset0:190 offset1:239
	v_add_f16_e32 v15, v26, v41
	v_add_f16_e32 v26, v29, v24
	v_sub_f16_e32 v24, v24, v29
	v_add_f16_e32 v50, v50, v39
	v_fmamk_f16 v54, v91, 0xb574, v90
	v_fmac_f16_e32 v52, 0xb70e, v95
	v_fmamk_f16 v85, v56, 0x2b26, v57
	v_add_f16_e32 v32, v24, v14
	v_sub_f16_e32 v33, v24, v14
	v_fmac_f16_e32 v54, 0xb70e, v94
	v_add_f16_e32 v97, v52, v1
	v_add_f16_e32 v85, v85, v58
	v_fmac_f16_e32 v86, 0xb70e, v82
	v_mul_f16_e32 v33, 0x3846, v33
	v_fmac_f16_e32 v87, 0xb70e, v80
	v_fmac_f16_e32 v51, 0xb70e, v47
	;; [unrolled: 1-line block ×3, first 2 shown]
	v_sub_f16_e32 v98, v2, v54
	v_sub_f16_e32 v89, v85, v87
	v_add_f16_e32 v55, v51, v49
	v_sub_f16_e32 v56, v50, v53
	v_pack_b32_f16 v97, v97, v98
	buffer_load_dword v98, off, s[20:23], 0 offset:220 ; 4-byte Folded Reload
	v_pack_b32_f16 v55, v55, v56
	ds_write2_b32 v203, v44, v55 offset0:92 offset1:141
	s_waitcnt vmcnt(1)
	ds_write2_b32 v5, v6, v4 offset0:32 offset1:81
	v_add_f16_e32 v6, v28, v42
	v_add_f16_e32 v4, v30, v40
	;; [unrolled: 1-line block ×3, first 2 shown]
	v_sub_f16_e32 v25, v25, v27
	v_sub_f16_e32 v5, v30, v40
	v_add_f16_e32 v27, v15, v6
	v_add_f16_e32 v29, v13, v4
	v_add_f16_e32 v34, v25, v23
	v_sub_f16_e32 v35, v25, v23
	v_add_f16_e32 v27, v28, v27
	v_add_f16_e32 v29, v26, v29
	v_sub_f16_e32 v24, v5, v24
	v_add_f16_e32 v32, v32, v5
	v_sub_f16_e32 v25, v12, v25
	v_add_f16_sdwa v30, v27, v7 dst_sel:DWORD dst_unused:UNUSED_PAD src0_sel:DWORD src1_sel:WORD_1
	v_add_f16_e32 v7, v29, v7
	v_add_f16_e32 v34, v34, v12
	v_mul_f16_e32 v35, 0x3846, v35
	v_sub_f16_e32 v5, v14, v5
	v_lshlrev_b32_e32 v31, 16, v30
	v_fmac_f16_e32 v30, 0xbcab, v27
	v_sub_f16_e32 v27, v4, v26
	v_sub_f16_e32 v26, v26, v13
	;; [unrolled: 1-line block ×3, first 2 shown]
	v_or_b32_sdwa v31, v31, v7 dst_sel:DWORD dst_unused:UNUSED_PAD src0_sel:DWORD src1_sel:WORD_0
	v_fmac_f16_e32 v7, 0xbcab, v29
	v_sub_f16_e32 v29, v6, v28
	v_sub_f16_e32 v28, v28, v15
	v_mul_f16_e32 v27, 0x3a52, v27
	v_sub_f16_e32 v4, v13, v4
	v_sub_f16_e32 v6, v15, v6
	v_mul_f16_e32 v29, 0x3a52, v29
	v_mul_f16_e32 v13, 0x2b26, v26
	v_mul_f16_e32 v14, 0x2b26, v28
	v_fma_f16 v15, v5, 0xbb00, -v33
	v_mul_f16_e32 v5, 0x3b00, v5
	v_fma_f16 v23, v12, 0xbb00, -v35
	v_mul_f16_e32 v12, 0x3b00, v12
	v_fma_f16 v13, v4, 0x39e0, -v13
	v_fma_f16 v4, v4, 0xb9e0, -v27
	;; [unrolled: 1-line block ×4, first 2 shown]
	v_fmac_f16_e32 v5, 0x3574, v24
	v_fmac_f16_e32 v12, 0x3574, v25
	v_fmamk_f16 v36, v26, 0x2b26, v27
	v_add_f16_e32 v4, v4, v7
	v_add_f16_e32 v6, v6, v30
	v_fmac_f16_e32 v5, 0xb70e, v32
	v_fmac_f16_e32 v12, 0xb70e, v34
	v_add_f16_e32 v36, v36, v7
	v_fmamk_f16 v39, v24, 0xb574, v33
	v_add_f16_e32 v13, v13, v7
	v_add_f16_e32 v7, v14, v30
	v_fmac_f16_e32 v15, 0xb70e, v32
	v_fmac_f16_e32 v23, 0xb70e, v34
	v_add_f16_e32 v14, v12, v4
	v_sub_f16_e32 v24, v6, v5
	v_fmamk_f16 v38, v25, 0xb574, v35
	v_add_f16_e32 v25, v15, v7
	v_sub_f16_e32 v7, v7, v15
	v_sub_f16_e32 v4, v4, v12
	v_pack_b32_f16 v14, v14, v24
	v_sub_f16_e32 v24, v13, v23
	v_add_f16_e32 v13, v23, v13
	v_add_f16_e32 v5, v5, v6
	;; [unrolled: 1-line block ×3, first 2 shown]
	v_sub_f16_e32 v11, v11, v20
	v_pack_b32_f16 v24, v24, v25
	buffer_load_dword v25, off, s[20:23], 0 offset:196 ; 4-byte Folded Reload
	v_pack_b32_f16 v6, v13, v7
	v_pack_b32_f16 v4, v4, v5
	v_add_f16_e32 v5, v16, v22
	v_add_f16_e32 v7, v8, v19
	v_sub_f16_e32 v8, v8, v19
	v_add_f16_e32 v13, v9, v18
	v_sub_f16_e32 v9, v18, v9
	v_add_f16_e32 v15, v12, v5
	v_fmamk_f16 v37, v28, 0x2b26, v29
	v_fmac_f16_e32 v38, 0xb70e, v34
	v_fmac_f16_e32 v39, 0xb70e, v32
	v_add_f16_e32 v19, v9, v8
	v_sub_f16_e32 v20, v9, v8
	v_add_f16_e32 v37, v37, v30
	v_add_f16_e32 v40, v38, v36
	s_waitcnt vmcnt(1)
	ds_write2_b32 v98, v88, v97 offset0:174 offset1:223
	v_add_f16_e32 v88, v86, v84
	v_mul_f16_e32 v20, 0x3846, v20
	v_sub_f16_e32 v41, v37, v39
	v_pack_b32_f16 v88, v88, v89
	v_pack_b32_f16 v40, v40, v41
	buffer_load_dword v41, off, s[20:23], 0 offset:192 ; 4-byte Folded Reload
	ds_write2_b32 v223, v59, v88 offset0:5 offset1:54
	s_waitcnt vmcnt(1)
	ds_write2_b32 v25, v14, v24 offset0:21 offset1:70
	ds_write2_b32 v25, v6, v4 offset0:119 offset1:168
	v_add_f16_e32 v4, v3, v21
	v_add_f16_e32 v14, v10, v17
	v_sub_f16_e32 v6, v16, v22
	v_sub_f16_e32 v3, v3, v21
	;; [unrolled: 1-line block ×3, first 2 shown]
	v_add_f16_e32 v16, v7, v4
	v_add_f16_e32 v15, v14, v15
	v_sub_f16_e32 v9, v3, v9
	v_add_f16_e32 v19, v19, v3
	v_add_f16_e32 v16, v13, v16
	v_add_f16_sdwa v17, v15, v0 dst_sel:DWORD dst_unused:UNUSED_PAD src0_sel:DWORD src1_sel:WORD_1
	v_add_f16_e32 v21, v10, v11
	v_sub_f16_e32 v22, v10, v11
	v_sub_f16_e32 v3, v8, v3
	v_add_f16_e32 v0, v16, v0
	v_lshlrev_b32_e32 v18, 16, v17
	v_fmac_f16_e32 v17, 0xbcab, v15
	v_sub_f16_e32 v15, v4, v13
	v_sub_f16_e32 v13, v13, v7
	;; [unrolled: 1-line block ×3, first 2 shown]
	v_or_b32_sdwa v18, v18, v0 dst_sel:DWORD dst_unused:UNUSED_PAD src0_sel:DWORD src1_sel:WORD_0
	v_fmac_f16_e32 v0, 0xbcab, v16
	v_sub_f16_e32 v16, v5, v14
	v_sub_f16_e32 v14, v14, v12
	v_add_f16_e32 v21, v21, v6
	v_mul_f16_e32 v22, 0x3846, v22
	v_sub_f16_e32 v6, v11, v6
	v_fma_f16 v11, v3, 0xbb00, -v20
	v_mul_f16_e32 v3, 0x3b00, v3
	v_mul_f16_e32 v15, 0x3a52, v15
	;; [unrolled: 1-line block ×3, first 2 shown]
	v_fmamk_f16 v26, v9, 0xb574, v20
	v_sub_f16_e32 v4, v7, v4
	v_sub_f16_e32 v5, v12, v5
	v_mul_f16_e32 v7, 0x2b26, v13
	v_mul_f16_e32 v8, 0x2b26, v14
	v_fmac_f16_e32 v3, 0x3574, v9
	v_fma_f16 v9, v6, 0xbb00, -v22
	v_mul_f16_e32 v6, 0x3b00, v6
	v_fmamk_f16 v23, v13, 0x2b26, v15
	v_fma_f16 v7, v4, 0x39e0, -v7
	v_fma_f16 v4, v4, 0xb9e0, -v15
	;; [unrolled: 1-line block ×4, first 2 shown]
	v_fmac_f16_e32 v6, 0x3574, v10
	v_add_f16_e32 v23, v23, v0
	v_add_f16_e32 v7, v7, v0
	;; [unrolled: 1-line block ×4, first 2 shown]
	v_fmac_f16_e32 v3, 0xb70e, v19
	v_fmac_f16_e32 v6, 0xb70e, v21
	v_fmamk_f16 v25, v10, 0xb574, v22
	v_add_f16_e32 v4, v8, v17
	v_fmac_f16_e32 v11, 0xb70e, v19
	v_fmac_f16_e32 v9, 0xb70e, v21
	v_add_f16_e32 v8, v6, v0
	v_sub_f16_e32 v10, v5, v3
	v_sub_f16_e32 v0, v0, v6
	v_add_f16_e32 v12, v11, v4
	v_sub_f16_e32 v4, v4, v11
	v_add_f16_e32 v3, v3, v5
	v_pack_b32_f16 v8, v8, v10
	v_sub_f16_e32 v10, v7, v9
	v_add_f16_e32 v7, v9, v7
	v_fmamk_f16 v24, v14, 0x2b26, v16
	v_pack_b32_f16 v0, v0, v3
	v_fmac_f16_e32 v25, 0xb70e, v21
	v_fmac_f16_e32 v26, 0xb70e, v19
	v_pack_b32_f16 v4, v7, v4
	v_add_f16_e32 v24, v24, v17
	v_pack_b32_f16 v10, v10, v12
	v_add_f16_e32 v27, v25, v23
	s_waitcnt vmcnt(0)
	ds_write2_b32 v41, v31, v40 offset0:179 offset1:228
	ds_write2_b32 v219, v4, v0 offset0:206 offset1:255
	v_sub_f16_e32 v0, v1, v52
	v_add_f16_e32 v1, v54, v2
	v_sub_f16_e32 v28, v24, v26
	ds_write2_b32 v219, v8, v10 offset0:108 offset1:157
	v_pack_b32_f16 v0, v0, v1
	buffer_load_dword v1, off, s[20:23], 0 offset:216 ; 4-byte Folded Reload
	v_pack_b32_f16 v27, v27, v28
	ds_write2_b32 v219, v18, v27 offset0:10 offset1:59
	s_waitcnt vmcnt(0)
	ds_write_b32 v1, v0 offset:3920
	v_sub_f16_e32 v0, v84, v86
	v_add_f16_e32 v1, v87, v85
	v_pack_b32_f16 v0, v0, v1
	buffer_load_dword v1, off, s[20:23], 0 offset:212 ; 4-byte Folded Reload
	s_waitcnt vmcnt(0)
	ds_write_b32 v1, v0 offset:5292
	v_sub_f16_e32 v0, v49, v51
	v_add_f16_e32 v1, v53, v50
	v_pack_b32_f16 v0, v0, v1
	buffer_load_dword v1, off, s[20:23], 0 offset:208 ; 4-byte Folded Reload
	;; [unrolled: 6-line block ×4, first 2 shown]
	s_waitcnt vmcnt(0)
	ds_write_b32 v1, v0 offset:9408
	s_waitcnt lgkmcnt(0)
	s_barrier
	buffer_gl0_inv
	ds_read2_b32 v[0:1], v193 offset0:38 offset1:87
	ds_read2_b32 v[18:19], v181 offset0:122 offset1:171
	s_waitcnt lgkmcnt(1)
	v_lshrrev_b32_e32 v2, 16, v1
	v_mul_f16_sdwa v3, v107, v1 dst_sel:DWORD dst_unused:UNUSED_PAD src0_sel:WORD_1 src1_sel:DWORD
	s_waitcnt lgkmcnt(0)
	v_mul_f16_sdwa v21, v78, v19 dst_sel:DWORD dst_unused:UNUSED_PAD src0_sel:WORD_1 src1_sel:DWORD
	v_mul_f16_sdwa v54, v107, v2 dst_sel:DWORD dst_unused:UNUSED_PAD src0_sel:WORD_1 src1_sel:DWORD
	v_fma_f16 v53, v107, v2, -v3
	ds_read2_b32 v[2:3], v187 offset0:174 offset1:223
	v_fmac_f16_e32 v54, v107, v1
	s_waitcnt lgkmcnt(0)
	v_lshrrev_b32_e32 v4, 16, v2
	v_mul_f16_sdwa v5, v108, v2 dst_sel:DWORD dst_unused:UNUSED_PAD src0_sel:WORD_1 src1_sel:DWORD
	v_lshrrev_b32_e32 v1, 16, v3
	v_mul_f16_sdwa v56, v108, v4 dst_sel:DWORD dst_unused:UNUSED_PAD src0_sel:WORD_1 src1_sel:DWORD
	v_fma_f16 v55, v108, v4, -v5
	ds_read2_b32 v[4:5], v222 offset0:84 offset1:133
	v_mul_f16_sdwa v59, v253, v1 dst_sel:DWORD dst_unused:UNUSED_PAD src0_sel:WORD_1 src1_sel:DWORD
	v_fmac_f16_e32 v56, v108, v2
	v_mul_f16_sdwa v2, v253, v3 dst_sel:DWORD dst_unused:UNUSED_PAD src0_sel:WORD_1 src1_sel:DWORD
	v_fmac_f16_e32 v59, v253, v3
	v_fma_f16 v93, v253, v1, -v2
	ds_read2_b32 v[1:2], v193 offset0:136 offset1:185
	s_waitcnt lgkmcnt(1)
	v_lshrrev_b32_e32 v6, 16, v5
	v_mul_f16_sdwa v7, v109, v5 dst_sel:DWORD dst_unused:UNUSED_PAD src0_sel:WORD_1 src1_sel:DWORD
	v_mul_f16_sdwa v58, v109, v6 dst_sel:DWORD dst_unused:UNUSED_PAD src0_sel:WORD_1 src1_sel:DWORD
	v_fma_f16 v57, v109, v6, -v7
	ds_read2_b32 v[6:7], v184 offset0:92 offset1:141
	v_fmac_f16_e32 v58, v109, v5
	s_waitcnt lgkmcnt(0)
	v_lshrrev_b32_e32 v3, 16, v7
	v_mul_f16_sdwa v5, v255, v7 dst_sel:DWORD dst_unused:UNUSED_PAD src0_sel:WORD_1 src1_sel:DWORD
	v_lshrrev_b32_e32 v8, 16, v6
	v_mul_f16_sdwa v9, v110, v6 dst_sel:DWORD dst_unused:UNUSED_PAD src0_sel:WORD_1 src1_sel:DWORD
	v_mul_f16_sdwa v89, v255, v3 dst_sel:DWORD dst_unused:UNUSED_PAD src0_sel:WORD_1 src1_sel:DWORD
	v_fma_f16 v95, v255, v3, -v5
	v_lshrrev_b32_e32 v3, 16, v1
	v_mul_f16_sdwa v85, v110, v8 dst_sel:DWORD dst_unused:UNUSED_PAD src0_sel:WORD_1 src1_sel:DWORD
	v_mul_f16_sdwa v5, v252, v1 dst_sel:DWORD dst_unused:UNUSED_PAD src0_sel:WORD_1 src1_sel:DWORD
	v_fmac_f16_e32 v89, v255, v7
	v_fma_f16 v80, v110, v8, -v9
	v_mul_f16_sdwa v98, v252, v3 dst_sel:DWORD dst_unused:UNUSED_PAD src0_sel:WORD_1 src1_sel:DWORD
	v_fmac_f16_e32 v85, v110, v6
	v_fma_f16 v96, v252, v3, -v5
	ds_read2_b32 v[5:6], v183 offset0:54 offset1:103
	v_fmac_f16_e32 v98, v252, v1
	v_lshrrev_b32_e32 v1, 16, v2
	v_mul_f16_sdwa v81, v60, v1 dst_sel:DWORD dst_unused:UNUSED_PAD src0_sel:WORD_1 src1_sel:DWORD
	v_fmac_f16_e32 v81, v60, v2
	v_mul_f16_sdwa v2, v60, v2 dst_sel:DWORD dst_unused:UNUSED_PAD src0_sel:WORD_1 src1_sel:DWORD
	v_fma_f16 v83, v60, v1, -v2
	ds_read2_b32 v[1:2], v186 offset0:16 offset1:65
	s_waitcnt lgkmcnt(1)
	v_lshrrev_b32_e32 v3, 16, v5
	v_mul_f16_sdwa v7, v254, v5 dst_sel:DWORD dst_unused:UNUSED_PAD src0_sel:WORD_1 src1_sel:DWORD
	v_mul_f16_sdwa v99, v254, v3 dst_sel:DWORD dst_unused:UNUSED_PAD src0_sel:WORD_1 src1_sel:DWORD
	v_fma_f16 v97, v254, v3, -v7
	v_lshrrev_b32_e32 v3, 16, v6
	v_fmac_f16_e32 v99, v254, v5
	v_mul_f16_sdwa v5, v62, v6 dst_sel:DWORD dst_unused:UNUSED_PAD src0_sel:WORD_1 src1_sel:DWORD
	v_mul_f16_sdwa v82, v62, v3 dst_sel:DWORD dst_unused:UNUSED_PAD src0_sel:WORD_1 src1_sel:DWORD
	v_fma_f16 v84, v62, v3, -v5
	v_fmac_f16_e32 v82, v62, v6
	s_waitcnt lgkmcnt(0)
	v_lshrrev_b32_e32 v3, 16, v1
	v_mul_f16_sdwa v5, v61, v1 dst_sel:DWORD dst_unused:UNUSED_PAD src0_sel:WORD_1 src1_sel:DWORD
	v_mul_f16_sdwa v91, v61, v3 dst_sel:DWORD dst_unused:UNUSED_PAD src0_sel:WORD_1 src1_sel:DWORD
	v_fma_f16 v90, v61, v3, -v5
	ds_read2_b32 v[5:6], v184 offset0:190 offset1:239
	v_fmac_f16_e32 v91, v61, v1
	v_lshrrev_b32_e32 v1, 16, v2
	v_mul_f16_sdwa v9, v65, v1 dst_sel:DWORD dst_unused:UNUSED_PAD src0_sel:WORD_1 src1_sel:DWORD
	v_fmac_f16_e32 v9, v65, v2
	v_mul_f16_sdwa v2, v65, v2 dst_sel:DWORD dst_unused:UNUSED_PAD src0_sel:WORD_1 src1_sel:DWORD
	v_fma_f16 v22, v65, v1, -v2
	ds_read2_b32 v[1:2], v191 offset0:106 offset1:155
	s_waitcnt lgkmcnt(1)
	v_lshrrev_b32_e32 v3, 16, v5
	v_mul_f16_sdwa v7, v63, v5 dst_sel:DWORD dst_unused:UNUSED_PAD src0_sel:WORD_1 src1_sel:DWORD
	v_mul_f16_sdwa v94, v63, v3 dst_sel:DWORD dst_unused:UNUSED_PAD src0_sel:WORD_1 src1_sel:DWORD
	v_fma_f16 v92, v63, v3, -v7
	v_lshrrev_b32_e32 v3, 16, v6
	v_fmac_f16_e32 v94, v63, v5
	v_mul_f16_sdwa v5, v67, v6 dst_sel:DWORD dst_unused:UNUSED_PAD src0_sel:WORD_1 src1_sel:DWORD
	v_mul_f16_sdwa v17, v67, v3 dst_sel:DWORD dst_unused:UNUSED_PAD src0_sel:WORD_1 src1_sel:DWORD
	v_fma_f16 v23, v67, v3, -v5
	v_fmac_f16_e32 v17, v67, v6
	s_waitcnt lgkmcnt(0)
	v_lshrrev_b32_e32 v3, 16, v1
	v_mul_f16_sdwa v5, v64, v1 dst_sel:DWORD dst_unused:UNUSED_PAD src0_sel:WORD_1 src1_sel:DWORD
	v_mul_f16_sdwa v29, v64, v3 dst_sel:DWORD dst_unused:UNUSED_PAD src0_sel:WORD_1 src1_sel:DWORD
	v_fma_f16 v26, v64, v3, -v5
	ds_read2_b32 v[5:6], v183 offset0:152 offset1:201
	v_fmac_f16_e32 v29, v64, v1
	v_lshrrev_b32_e32 v1, 16, v2
	v_mul_f16_sdwa v28, v68, v1 dst_sel:DWORD dst_unused:UNUSED_PAD src0_sel:WORD_1 src1_sel:DWORD
	v_fmac_f16_e32 v28, v68, v2
	v_mul_f16_sdwa v2, v68, v2 dst_sel:DWORD dst_unused:UNUSED_PAD src0_sel:WORD_1 src1_sel:DWORD
	s_waitcnt lgkmcnt(0)
	v_lshrrev_b32_e32 v3, 16, v5
	v_mul_f16_sdwa v7, v66, v5 dst_sel:DWORD dst_unused:UNUSED_PAD src0_sel:WORD_1 src1_sel:DWORD
	v_fma_f16 v32, v68, v1, -v2
	ds_read2_b32 v[1:2], v186 offset0:114 offset1:163
	v_mul_f16_sdwa v27, v66, v3 dst_sel:DWORD dst_unused:UNUSED_PAD src0_sel:WORD_1 src1_sel:DWORD
	v_fma_f16 v25, v66, v3, -v7
	v_lshrrev_b32_e32 v3, 16, v6
	v_fmac_f16_e32 v27, v66, v5
	v_mul_f16_sdwa v5, v70, v6 dst_sel:DWORD dst_unused:UNUSED_PAD src0_sel:WORD_1 src1_sel:DWORD
	v_mul_f16_sdwa v30, v70, v3 dst_sel:DWORD dst_unused:UNUSED_PAD src0_sel:WORD_1 src1_sel:DWORD
	v_fma_f16 v31, v70, v3, -v5
	v_fmac_f16_e32 v30, v70, v6
	ds_read2_b32 v[6:7], v192 offset0:32 offset1:81
	s_waitcnt lgkmcnt(1)
	v_lshrrev_b32_e32 v3, 16, v1
	v_mul_f16_sdwa v5, v69, v1 dst_sel:DWORD dst_unused:UNUSED_PAD src0_sel:WORD_1 src1_sel:DWORD
	v_mul_f16_sdwa v34, v69, v3 dst_sel:DWORD dst_unused:UNUSED_PAD src0_sel:WORD_1 src1_sel:DWORD
	v_fma_f16 v33, v69, v3, -v5
	v_fmac_f16_e32 v34, v69, v1
	v_lshrrev_b32_e32 v1, 16, v2
	s_waitcnt lgkmcnt(0)
	v_lshrrev_b32_e32 v3, 16, v6
	v_mul_f16_sdwa v5, v71, v6 dst_sel:DWORD dst_unused:UNUSED_PAD src0_sel:WORD_1 src1_sel:DWORD
	v_mul_f16_sdwa v36, v71, v3 dst_sel:DWORD dst_unused:UNUSED_PAD src0_sel:WORD_1 src1_sel:DWORD
	v_fma_f16 v35, v71, v3, -v5
	v_mul_f16_sdwa v5, v73, v1 dst_sel:DWORD dst_unused:UNUSED_PAD src0_sel:WORD_1 src1_sel:DWORD
	v_lshrrev_b32_e32 v3, 16, v7
	v_fmac_f16_e32 v36, v71, v6
	v_add_f16_e32 v107, v31, v35
	v_fmac_f16_e32 v5, v73, v2
	v_mul_f16_sdwa v2, v73, v2 dst_sel:DWORD dst_unused:UNUSED_PAD src0_sel:WORD_1 src1_sel:DWORD
	v_mul_f16_sdwa v6, v75, v3 dst_sel:DWORD dst_unused:UNUSED_PAD src0_sel:WORD_1 src1_sel:DWORD
	v_fma_f16 v8, v73, v1, -v2
	ds_read2_b32 v[1:2], v187 offset0:76 offset1:125
	v_fmac_f16_e32 v6, v75, v7
	v_mul_f16_sdwa v7, v75, v7 dst_sel:DWORD dst_unused:UNUSED_PAD src0_sel:WORD_1 src1_sel:DWORD
	v_fma_f16 v7, v75, v3, -v7
	s_waitcnt lgkmcnt(0)
	v_lshrrev_b32_e32 v3, 16, v1
	v_mul_f16_sdwa v10, v72, v1 dst_sel:DWORD dst_unused:UNUSED_PAD src0_sel:WORD_1 src1_sel:DWORD
	v_mul_f16_sdwa v15, v72, v3 dst_sel:DWORD dst_unused:UNUSED_PAD src0_sel:WORD_1 src1_sel:DWORD
	v_fma_f16 v11, v72, v3, -v10
	v_lshrrev_b32_e32 v3, 16, v18
	v_mul_f16_sdwa v10, v74, v18 dst_sel:DWORD dst_unused:UNUSED_PAD src0_sel:WORD_1 src1_sel:DWORD
	v_fmac_f16_e32 v15, v72, v1
	v_lshrrev_b32_e32 v1, 16, v2
	v_mul_f16_sdwa v12, v74, v3 dst_sel:DWORD dst_unused:UNUSED_PAD src0_sel:WORD_1 src1_sel:DWORD
	v_fma_f16 v10, v74, v3, -v10
	v_lshrrev_b32_e32 v3, 16, v4
	v_mul_f16_sdwa v13, v76, v1 dst_sel:DWORD dst_unused:UNUSED_PAD src0_sel:WORD_1 src1_sel:DWORD
	v_fmac_f16_e32 v12, v74, v18
	v_lshrrev_b32_e32 v18, 16, v19
	v_mul_f16_sdwa v14, v77, v3 dst_sel:DWORD dst_unused:UNUSED_PAD src0_sel:WORD_1 src1_sel:DWORD
	v_add_f16_e32 v130, v10, v7
	v_fmac_f16_e32 v13, v76, v2
	v_mul_f16_sdwa v2, v76, v2 dst_sel:DWORD dst_unused:UNUSED_PAD src0_sel:WORD_1 src1_sel:DWORD
	v_mul_f16_sdwa v16, v78, v18 dst_sel:DWORD dst_unused:UNUSED_PAD src0_sel:WORD_1 src1_sel:DWORD
	v_fmac_f16_e32 v14, v77, v4
	v_mul_f16_sdwa v4, v77, v4 dst_sel:DWORD dst_unused:UNUSED_PAD src0_sel:WORD_1 src1_sel:DWORD
	v_fma_f16 v18, v78, v18, -v21
	v_fma_f16 v20, v76, v1, -v2
	ds_read2_b32 v[1:2], v192 offset0:130 offset1:179
	v_fmac_f16_e32 v16, v78, v19
	v_fma_f16 v19, v77, v3, -v4
	v_sub_f16_e32 v131, v7, v10
	s_waitcnt lgkmcnt(0)
	v_lshrrev_b32_e32 v3, 16, v1
	v_mul_f16_sdwa v4, v79, v1 dst_sel:DWORD dst_unused:UNUSED_PAD src0_sel:WORD_1 src1_sel:DWORD
	v_mul_f16_sdwa v24, v79, v3 dst_sel:DWORD dst_unused:UNUSED_PAD src0_sel:WORD_1 src1_sel:DWORD
	v_fma_f16 v21, v79, v3, -v4
	v_fmac_f16_e32 v24, v79, v1
	v_lshrrev_b32_e32 v1, 16, v2
	v_sub_f16_e32 v134, v21, v18
	v_sub_f16_e32 v133, v24, v16
	v_mul_f16_sdwa v3, v137, v1 dst_sel:DWORD dst_unused:UNUSED_PAD src0_sel:WORD_1 src1_sel:DWORD
	v_fmac_f16_e32 v3, v137, v2
	v_mul_f16_sdwa v2, v137, v2 dst_sel:DWORD dst_unused:UNUSED_PAD src0_sel:WORD_1 src1_sel:DWORD
	v_fma_f16 v4, v137, v1, -v2
	ds_read2_b32 v[1:2], v182 offset0:10 offset1:59
	s_waitcnt lgkmcnt(0)
	v_lshrrev_b32_e32 v37, 16, v1
	v_mul_f16_sdwa v38, v138, v1 dst_sel:DWORD dst_unused:UNUSED_PAD src0_sel:WORD_1 src1_sel:DWORD
	v_mul_f16_sdwa v69, v138, v37 dst_sel:DWORD dst_unused:UNUSED_PAD src0_sel:WORD_1 src1_sel:DWORD
	v_fma_f16 v68, v138, v37, -v38
	v_fmac_f16_e32 v69, v138, v1
	v_lshrrev_b32_e32 v1, 16, v2
	v_mul_f16_sdwa v60, v196, v1 dst_sel:DWORD dst_unused:UNUSED_PAD src0_sel:WORD_1 src1_sel:DWORD
	v_fmac_f16_e32 v60, v196, v2
	v_mul_f16_sdwa v2, v196, v2 dst_sel:DWORD dst_unused:UNUSED_PAD src0_sel:WORD_1 src1_sel:DWORD
	v_fma_f16 v61, v196, v1, -v2
	ds_read2_b32 v[1:2], v185 offset0:100 offset1:149
	v_sub_f16_e32 v86, v96, v61
	s_waitcnt lgkmcnt(0)
	v_lshrrev_b32_e32 v37, 16, v1
	v_mul_f16_sdwa v38, v195, v1 dst_sel:DWORD dst_unused:UNUSED_PAD src0_sel:WORD_1 src1_sel:DWORD
	v_mul_f16_sdwa v67, v195, v37 dst_sel:DWORD dst_unused:UNUSED_PAD src0_sel:WORD_1 src1_sel:DWORD
	v_fma_f16 v62, v195, v37, -v38
	v_fmac_f16_e32 v67, v195, v1
	v_lshrrev_b32_e32 v1, 16, v2
	v_mul_f16_sdwa v63, v113, v1 dst_sel:DWORD dst_unused:UNUSED_PAD src0_sel:WORD_1 src1_sel:DWORD
	v_fmac_f16_e32 v63, v113, v2
	v_mul_f16_sdwa v2, v113, v2 dst_sel:DWORD dst_unused:UNUSED_PAD src0_sel:WORD_1 src1_sel:DWORD
	v_fma_f16 v64, v113, v1, -v2
	ds_read2_b32 v[1:2], v182 offset0:108 offset1:157
	s_waitcnt lgkmcnt(0)
	v_lshrrev_b32_e32 v37, 16, v1
	v_mul_f16_sdwa v38, v114, v1 dst_sel:DWORD dst_unused:UNUSED_PAD src0_sel:WORD_1 src1_sel:DWORD
	v_mul_f16_sdwa v66, v114, v37 dst_sel:DWORD dst_unused:UNUSED_PAD src0_sel:WORD_1 src1_sel:DWORD
	v_fma_f16 v65, v114, v37, -v38
	v_fmac_f16_e32 v66, v114, v1
	v_lshrrev_b32_e32 v1, 16, v2
	v_add_f16_e32 v88, v81, v66
	v_mul_f16_sdwa v49, v116, v1 dst_sel:DWORD dst_unused:UNUSED_PAD src0_sel:WORD_1 src1_sel:DWORD
	v_fmac_f16_e32 v49, v116, v2
	v_mul_f16_sdwa v2, v116, v2 dst_sel:DWORD dst_unused:UNUSED_PAD src0_sel:WORD_1 src1_sel:DWORD
	v_fma_f16 v51, v116, v1, -v2
	ds_read2_b32 v[1:2], v188 offset0:70 offset1:119
	s_waitcnt lgkmcnt(0)
	v_lshrrev_b32_e32 v37, 16, v1
	v_mul_f16_sdwa v38, v115, v1 dst_sel:DWORD dst_unused:UNUSED_PAD src0_sel:WORD_1 src1_sel:DWORD
	v_mul_f16_sdwa v52, v115, v37 dst_sel:DWORD dst_unused:UNUSED_PAD src0_sel:WORD_1 src1_sel:DWORD
	v_fma_f16 v50, v115, v37, -v38
	v_fmac_f16_e32 v52, v115, v1
	v_lshrrev_b32_e32 v1, 16, v2
	v_add_f16_e32 v110, v22, v50
	v_sub_f16_e32 v111, v22, v50
	v_sub_f16_e32 v50, v17, v27
	;; [unrolled: 1-line block ×3, first 2 shown]
	v_mul_f16_sdwa v45, v117, v1 dst_sel:DWORD dst_unused:UNUSED_PAD src0_sel:WORD_1 src1_sel:DWORD
	v_fmac_f16_e32 v45, v117, v2
	v_mul_f16_sdwa v2, v117, v2 dst_sel:DWORD dst_unused:UNUSED_PAD src0_sel:WORD_1 src1_sel:DWORD
	v_add_f16_e32 v112, v34, v45
	v_fma_f16 v46, v117, v1, -v2
	ds_read2_b32 v[1:2], v182 offset0:206 offset1:255
	v_sub_f16_e32 v113, v34, v45
	v_add_f16_e32 v45, v30, v36
	v_sub_f16_e32 v36, v36, v30
	v_add_f16_e32 v114, v33, v46
	v_sub_f16_e32 v116, v33, v46
	v_sub_f16_e32 v46, v35, v31
	;; [unrolled: 1-line block ×4, first 2 shown]
	s_waitcnt lgkmcnt(0)
	v_lshrrev_b32_e32 v37, 16, v1
	v_mul_f16_sdwa v38, v118, v1 dst_sel:DWORD dst_unused:UNUSED_PAD src0_sel:WORD_1 src1_sel:DWORD
	v_mul_f16_sdwa v48, v118, v37 dst_sel:DWORD dst_unused:UNUSED_PAD src0_sel:WORD_1 src1_sel:DWORD
	v_fma_f16 v47, v118, v37, -v38
	v_fmac_f16_e32 v48, v118, v1
	v_lshrrev_b32_e32 v1, 16, v2
	v_add_f16_e32 v102, v32, v47
	v_sub_f16_e32 v47, v32, v47
	v_add_f16_e32 v101, v28, v48
	v_mul_f16_sdwa v41, v120, v1 dst_sel:DWORD dst_unused:UNUSED_PAD src0_sel:WORD_1 src1_sel:DWORD
	v_sub_f16_e32 v48, v28, v48
	v_sub_f16_e32 v117, v114, v102
	;; [unrolled: 1-line block ×3, first 2 shown]
	v_fmac_f16_e32 v41, v120, v2
	v_mul_f16_sdwa v2, v120, v2 dst_sel:DWORD dst_unused:UNUSED_PAD src0_sel:WORD_1 src1_sel:DWORD
	v_fma_f16 v43, v120, v1, -v2
	ds_read2_b32 v[1:2], v188 offset0:168 offset1:217
	v_sub_f16_e32 v120, v116, v47
	s_waitcnt lgkmcnt(0)
	v_lshrrev_b32_e32 v37, 16, v1
	v_mul_f16_sdwa v38, v119, v1 dst_sel:DWORD dst_unused:UNUSED_PAD src0_sel:WORD_1 src1_sel:DWORD
	v_mul_f16_sdwa v44, v119, v37 dst_sel:DWORD dst_unused:UNUSED_PAD src0_sel:WORD_1 src1_sel:DWORD
	v_fma_f16 v42, v119, v37, -v38
	v_fmac_f16_e32 v44, v119, v1
	v_lshrrev_b32_e32 v1, 16, v2
	v_sub_f16_e32 v119, v113, v48
	v_mul_f16_sdwa v37, v121, v1 dst_sel:DWORD dst_unused:UNUSED_PAD src0_sel:WORD_1 src1_sel:DWORD
	v_fmac_f16_e32 v37, v121, v2
	v_mul_f16_sdwa v2, v121, v2 dst_sel:DWORD dst_unused:UNUSED_PAD src0_sel:WORD_1 src1_sel:DWORD
	v_sub_f16_e32 v126, v14, v37
	v_fma_f16 v38, v121, v1, -v2
	ds_read_b32 v1, v132 offset:9408
	v_sub_f16_e32 v137, v133, v126
	v_mul_f16_e32 v196, 0x3846, v137
	s_waitcnt lgkmcnt(0)
	v_lshrrev_b32_e32 v2, 16, v1
	v_mul_f16_sdwa v39, v122, v2 dst_sel:DWORD dst_unused:UNUSED_PAD src0_sel:WORD_1 src1_sel:DWORD
	v_fmac_f16_e32 v39, v122, v1
	v_mul_f16_sdwa v1, v122, v1 dst_sel:DWORD dst_unused:UNUSED_PAD src0_sel:WORD_1 src1_sel:DWORD
	v_sub_f16_e32 v125, v13, v39
	v_fma_f16 v40, v122, v2, -v1
	v_add_f16_e32 v1, v54, v69
	v_sub_f16_e32 v2, v54, v69
	v_add_f16_e32 v54, v53, v68
	v_sub_f16_e32 v53, v53, v68
	;; [unrolled: 2-line block ×5, first 2 shown]
	v_add_f16_e32 v69, v57, v80
	v_add_f16_e32 v70, v68, v1
	v_sub_f16_e32 v71, v68, v1
	v_sub_f16_e32 v72, v1, v55
	v_add_f16_e32 v1, v56, v54
	v_sub_f16_e32 v57, v80, v57
	v_sub_f16_e32 v73, v55, v68
	;; [unrolled: 3-line block ×3, first 2 shown]
	v_sub_f16_e32 v56, v69, v56
	v_add_f16_e32 v69, v69, v1
	v_add_f16_e32 v1, v58, v3
	v_sub_f16_e32 v74, v58, v3
	v_sub_f16_e32 v58, v2, v58
	;; [unrolled: 1-line block ×4, first 2 shown]
	v_add_f16_e32 v75, v1, v2
	v_add_f16_e32 v1, v57, v4
	v_sub_f16_e32 v57, v53, v57
	v_sub_f16_e32 v4, v4, v53
	v_mul_f16_e32 v54, 0x3a52, v54
	v_add_f16_e32 v80, v96, v61
	v_add_f16_e32 v53, v1, v53
	ds_read2_b32 v[1:2], v132 offset1:49
	v_sub_f16_e32 v61, v89, v99
	v_add_f16_e32 v122, v13, v39
	v_add_f16_e32 v39, v20, v40
	v_sub_f16_e32 v20, v20, v40
	v_add_f16_e32 v40, v14, v37
	v_add_f16_e32 v37, v19, v38
	;; [unrolled: 3-line block ×3, first 2 shown]
	v_sub_f16_e32 v208, v125, v133
	v_sub_f16_e32 v209, v20, v134
	;; [unrolled: 1-line block ×3, first 2 shown]
	v_mul_f16_e32 v203, 0x3a52, v135
	s_waitcnt lgkmcnt(0)
	v_add_f16_sdwa v77, v69, v1 dst_sel:DWORD dst_unused:UNUSED_PAD src0_sel:DWORD src1_sel:WORD_1
	v_add_f16_e32 v1, v55, v1
	v_fmamk_f16 v135, v208, 0xb574, v196
	v_lshlrev_b32_e32 v68, 16, v77
	v_fmac_f16_e32 v77, 0xbcab, v69
	v_mul_f16_e32 v69, 0x2b26, v73
	v_or_b32_sdwa v68, v68, v1 dst_sel:DWORD dst_unused:UNUSED_PAD src0_sel:DWORD src1_sel:WORD_0
	v_fmac_f16_e32 v1, 0xbcab, v55
	v_mul_f16_e32 v55, 0x3a52, v72
	v_fma_f16 v69, v71, 0x39e0, -v69
	v_fmamk_f16 v72, v73, 0x2b26, v55
	v_fma_f16 v55, v71, 0xb9e0, -v55
	v_mul_f16_e32 v71, 0x2b26, v56
	v_fmamk_f16 v56, v56, 0x2b26, v54
	v_fma_f16 v54, v70, 0xb9e0, -v54
	v_mul_f16_e32 v73, 0x3b00, v3
	v_add_f16_e32 v55, v55, v1
	v_fma_f16 v71, v70, 0x39e0, -v71
	v_mul_f16_e32 v70, 0x3846, v74
	v_add_f16_e32 v56, v56, v77
	v_fmac_f16_e32 v73, 0x3574, v58
	v_add_f16_e32 v54, v54, v77
	v_fma_f16 v74, v3, 0xbb00, -v70
	v_fmamk_f16 v78, v58, 0xb574, v70
	v_mul_f16_e32 v3, 0x3846, v76
	v_mul_f16_e32 v58, 0x3b00, v4
	v_fmac_f16_e32 v73, 0xb70e, v75
	v_fmac_f16_e32 v74, 0xb70e, v75
	;; [unrolled: 1-line block ×3, first 2 shown]
	v_fma_f16 v4, v4, 0xbb00, -v3
	v_fmamk_f16 v76, v57, 0xb574, v3
	v_fmac_f16_e32 v58, 0x3574, v57
	v_add_f16_e32 v57, v72, v1
	v_add_f16_e32 v3, v69, v1
	;; [unrolled: 1-line block ×3, first 2 shown]
	v_fmac_f16_e32 v4, 0xb70e, v53
	v_fmac_f16_e32 v76, 0xb70e, v53
	v_fmac_f16_e32 v58, 0xb70e, v53
	v_sub_f16_e32 v75, v54, v73
	v_add_f16_e32 v70, v74, v69
	v_sub_f16_e32 v1, v3, v4
	v_add_f16_e32 v3, v4, v3
	;; [unrolled: 2-line block ×4, first 2 shown]
	v_add_f16_e32 v53, v76, v57
	v_sub_f16_e32 v54, v56, v78
	v_add_f16_e32 v77, v98, v60
	v_add_f16_e32 v55, v59, v67
	v_sub_f16_e32 v72, v57, v76
	v_add_f16_e32 v73, v78, v56
	v_pack_b32_f16 v76, v53, v54
	v_add_f16_e32 v56, v99, v89
	v_add_f16_e32 v53, v55, v77
	;; [unrolled: 1-line block ×4, first 2 shown]
	v_pack_b32_f16 v1, v1, v70
	v_pack_b32_f16 v3, v3, v4
	v_add_f16_e32 v78, v56, v53
	v_add_f16_e32 v53, v57, v80
	v_pack_b32_f16 v4, v69, v71
	v_pack_b32_f16 v69, v72, v73
	ds_write_b32 v132, v76 offset:1372
	v_add_f16_e32 v73, v90, v64
	v_add_f16_e32 v79, v58, v53
	;; [unrolled: 1-line block ×3, first 2 shown]
	v_sub_f16_e32 v89, v81, v66
	v_add_f16_e32 v71, v91, v63
	v_sub_f16_e32 v70, v91, v63
	v_add_f16_sdwa v54, v79, v2 dst_sel:DWORD dst_unused:UNUSED_PAD src0_sel:DWORD src1_sel:WORD_1
	v_pack_b32_f16 v2, v74, v75
	ds_write_b32 v132, v2 offset:2744
	ds_write_b32 v132, v1 offset:4116
	ds_write_b32 v132, v3 offset:5488
	ds_write_b32 v132, v4 offset:6860
	ds_write_b32 v132, v69 offset:8232
	v_lshlrev_b32_e32 v1, 16, v54
	v_add_f16_e32 v81, v84, v92
	v_sub_f16_e32 v72, v90, v64
	v_sub_f16_e32 v59, v59, v67
	;; [unrolled: 1-line block ×3, first 2 shown]
	v_or_b32_sdwa v69, v1, v53 dst_sel:DWORD dst_unused:UNUSED_PAD src0_sel:DWORD src1_sel:WORD_0
	ds_read2_b32 v[3:4], v132 offset0:98 offset1:147
	ds_read2_b32 v[1:2], v132 offset0:196 offset1:245
	v_fmac_f16_e32 v53, 0xbcab, v78
	v_add_f16_e32 v78, v82, v94
	v_add_f16_e32 v67, v61, v59
	ds_write2_b32 v132, v68, v69 offset1:49
	v_sub_f16_e32 v68, v98, v60
	v_sub_f16_e32 v60, v93, v62
	;; [unrolled: 1-line block ×3, first 2 shown]
	v_add_f16_e32 v95, v83, v65
	v_sub_f16_e32 v97, v83, v65
	v_add_f16_e32 v74, v67, v68
	v_sub_f16_e32 v82, v59, v68
	v_add_f16_e32 v67, v62, v60
	v_add_f16_e32 v63, v73, v95
	v_sub_f16_e32 v83, v60, v86
	v_fmac_f16_e32 v54, 0xbcab, v79
	v_sub_f16_e32 v79, v92, v84
	v_sub_f16_e32 v76, v55, v77
	v_add_f16_e32 v64, v81, v63
	v_add_f16_e32 v63, v71, v88
	v_sub_f16_e32 v84, v68, v61
	v_add_f16_e32 v69, v67, v86
	v_sub_f16_e32 v85, v86, v62
	v_add_f16_e32 v91, v75, v70
	v_add_f16_e32 v66, v78, v63
	s_waitcnt lgkmcnt(2)
	v_add_f16_sdwa v63, v64, v3 dst_sel:DWORD dst_unused:UNUSED_PAD src0_sel:DWORD src1_sel:WORD_1
	v_sub_f16_e32 v100, v89, v75
	v_sub_f16_e32 v96, v70, v89
	v_add_f16_e32 v92, v91, v89
	v_add_f16_e32 v65, v66, v3
	v_lshlrev_b32_e32 v3, 16, v63
	v_fmac_f16_e32 v63, 0xbcab, v64
	v_sub_f16_e32 v64, v77, v56
	v_sub_f16_e32 v77, v57, v80
	v_add_f16_e32 v89, v79, v72
	v_or_b32_sdwa v3, v3, v65 dst_sel:DWORD dst_unused:UNUSED_PAD src0_sel:DWORD src1_sel:WORD_0
	v_fmac_f16_e32 v65, 0xbcab, v66
	v_sub_f16_e32 v66, v80, v58
	v_mul_f16_e32 v86, 0x3a52, v64
	v_mul_f16_e32 v64, 0x3b00, v82
	v_sub_f16_e32 v93, v71, v88
	v_sub_f16_e32 v88, v88, v78
	v_mul_f16_e32 v87, 0x3a52, v66
	v_mul_f16_e32 v66, 0x3b00, v83
	v_fmac_f16_e32 v64, 0x3574, v84
	v_fma_f16 v67, v76, 0xb9e0, -v86
	v_sub_f16_e32 v94, v73, v95
	v_fma_f16 v68, v77, 0xb9e0, -v87
	v_fmac_f16_e32 v66, 0x3574, v85
	v_fmac_f16_e32 v64, 0xb70e, v74
	v_add_f16_e32 v67, v67, v53
	v_sub_f16_e32 v104, v97, v79
	v_add_f16_e32 v68, v68, v54
	v_fmac_f16_e32 v66, 0xb70e, v69
	v_mul_f16_e32 v105, 0x3a52, v88
	v_mul_f16_e32 v88, 0x3b00, v96
	v_sub_f16_e32 v55, v56, v55
	v_sub_f16_e32 v90, v68, v64
	v_add_f16_e32 v80, v66, v67
	v_sub_f16_e32 v56, v58, v57
	v_fmac_f16_e32 v88, 0x3574, v100
	v_sub_f16_e32 v57, v61, v59
	v_sub_f16_e32 v58, v62, v60
	v_pack_b32_f16 v80, v80, v90
	v_sub_f16_e32 v90, v95, v81
	v_add_f16_e32 v95, v89, v97
	v_sub_f16_e32 v97, v72, v97
	v_fmac_f16_e32 v88, 0xb70e, v92
	v_mul_f16_e32 v58, 0x3846, v58
	v_mul_f16_e32 v106, 0x3a52, v90
	v_fma_f16 v90, v93, 0xb9e0, -v105
	v_mul_f16_e32 v89, 0x3b00, v97
	v_mul_f16_e32 v57, 0x3846, v57
	v_sub_f16_e32 v59, v78, v71
	v_fma_f16 v91, v94, 0xb9e0, -v106
	v_add_f16_e32 v90, v90, v65
	v_fmac_f16_e32 v89, 0x3574, v104
	v_sub_f16_e32 v60, v81, v73
	v_sub_f16_e32 v61, v75, v70
	v_add_f16_e32 v91, v91, v63
	v_sub_f16_e32 v62, v79, v72
	v_fmac_f16_e32 v89, 0xb70e, v95
	v_fmamk_f16 v70, v55, 0x2b26, v86
	v_fmamk_f16 v71, v56, 0x2b26, v87
	v_sub_f16_e32 v99, v91, v88
	v_fmamk_f16 v72, v85, 0xb574, v58
	v_add_f16_e32 v98, v89, v90
	v_fmamk_f16 v73, v84, 0xb574, v57
	v_mul_f16_e32 v55, 0x2b26, v55
	v_mul_f16_e32 v56, 0x2b26, v56
	v_add_f16_e32 v70, v70, v53
	v_pack_b32_f16 v98, v98, v99
	v_add_nc_u32_e32 v99, 0xa00, v132
	v_add_f16_e32 v71, v71, v54
	v_fmac_f16_e32 v72, 0xb70e, v69
	v_fmac_f16_e32 v73, 0xb70e, v74
	v_fma_f16 v55, v76, 0x39e0, -v55
	ds_write2_b32 v99, v80, v98 offset0:95 offset1:144
	v_add_f16_e32 v98, v29, v49
	v_sub_f16_e32 v29, v29, v49
	v_add_f16_e32 v49, v26, v51
	v_add_f16_e32 v80, v9, v52
	v_add_f16_e32 v99, v25, v23
	v_sub_f16_e32 v26, v26, v51
	v_add_f16_e32 v51, v27, v17
	v_add_f16_e32 v9, v110, v49
	v_sub_f16_e32 v52, v23, v25
	v_sub_f16_e32 v31, v80, v98
	;; [unrolled: 1-line block ×4, first 2 shown]
	v_add_f16_e32 v17, v99, v9
	v_add_f16_e32 v9, v80, v98
	v_sub_f16_e32 v110, v99, v110
	v_sub_f16_e32 v27, v52, v111
	v_mul_f16_e32 v28, 0x2b26, v109
	v_sub_f16_e32 v34, v108, v29
	v_add_f16_e32 v22, v51, v9
	v_add_f16_sdwa v9, v17, v4 dst_sel:DWORD dst_unused:UNUSED_PAD src0_sel:DWORD src1_sel:WORD_1
	v_sub_f16_e32 v35, v111, v26
	v_fma_f16 v28, v31, 0x39e0, -v28
	v_mul_f16_e32 v33, 0x2b26, v110
	v_add_f16_e32 v4, v22, v4
	v_lshlrev_b32_e32 v23, 16, v9
	v_fmac_f16_e32 v9, 0xbcab, v17
	v_add_f16_e32 v17, v114, v102
	v_mul_f16_e32 v123, 0x3846, v27
	v_fma_f16 v80, v32, 0x39e0, -v33
	v_or_b32_sdwa v103, v23, v4 dst_sel:DWORD dst_unused:UNUSED_PAD src0_sel:DWORD src1_sel:WORD_0
	v_fmac_f16_e32 v4, 0xbcab, v22
	v_add_f16_e32 v23, v107, v17
	v_add_f16_e32 v17, v112, v101
	v_fma_f16 v27, v35, 0xbb00, -v123
	v_sub_f16_e32 v112, v36, v113
	v_mul_f16_e32 v114, 0x2b26, v128
	v_fma_f16 v56, v77, 0x39e0, -v56
	v_add_f16_e32 v25, v45, v17
	s_waitcnt lgkmcnt(2)
	v_add_f16_sdwa v17, v23, v1 dst_sel:DWORD dst_unused:UNUSED_PAD src0_sel:DWORD src1_sel:WORD_1
	v_mul_f16_e32 v199, 0x3846, v112
	v_fma_f16 v114, v115, 0x39e0, -v114
	v_add_f16_e32 v75, v72, v70
	v_add_f16_e32 v22, v25, v1
	v_lshlrev_b32_e32 v1, 16, v17
	v_fmac_f16_e32 v17, 0xbcab, v23
	v_add_f16_e32 v23, v50, v108
	v_fma_f16 v118, v119, 0xbb00, -v199
	v_sub_f16_e32 v78, v71, v73
	v_or_b32_sdwa v1, v1, v22 dst_sel:DWORD dst_unused:UNUSED_PAD src0_sel:DWORD src1_sel:WORD_0
	v_fmac_f16_e32 v22, 0xbcab, v25
	v_sub_f16_e32 v25, v50, v108
	v_add_f16_e32 v30, v23, v29
	v_add_f16_e32 v23, v52, v111
	v_mul_f16_e32 v62, 0x3846, v62
	v_add_f16_e32 v112, v114, v22
	v_mul_f16_e32 v124, 0x3846, v25
	v_add_f16_e32 v25, v80, v9
	v_add_f16_e32 v33, v23, v26
	;; [unrolled: 1-line block ×3, first 2 shown]
	v_mul_f16_e32 v61, 0x3846, v61
	v_fma_f16 v28, v34, 0xbb00, -v124
	v_fma_f16 v57, v82, 0xbb00, -v57
	v_fmac_f16_e32 v27, 0xb70e, v33
	v_fma_f16 v58, v83, 0xbb00, -v58
	v_add_f16_e32 v53, v55, v53
	v_fmac_f16_e32 v28, 0xb70e, v30
	v_add_f16_e32 v54, v56, v54
	v_add_f16_e32 v80, v27, v23
	v_mul_f16_e32 v55, 0x2b26, v59
	v_mul_f16_e32 v56, 0x2b26, v60
	v_sub_f16_e32 v108, v25, v28
	v_pack_b32_f16 v75, v75, v78
	v_fmamk_f16 v78, v59, 0x2b26, v105
	v_fmamk_f16 v79, v60, 0x2b26, v106
	v_fmac_f16_e32 v57, 0xb70e, v74
	v_pack_b32_f16 v80, v80, v108
	v_add_f16_e32 v108, v36, v113
	v_sub_f16_e32 v113, v46, v116
	v_fma_f16 v55, v93, 0x39e0, -v55
	v_fma_f16 v56, v94, 0x39e0, -v56
	;; [unrolled: 1-line block ×3, first 2 shown]
	v_add_f16_e32 v111, v108, v48
	v_add_f16_e32 v108, v46, v116
	v_mul_f16_e32 v116, 0x2b26, v129
	v_mul_f16_e32 v195, 0x3846, v113
	v_fma_f16 v60, v97, 0xbb00, -v62
	v_fmac_f16_e32 v118, 0xb70e, v111
	v_add_f16_e32 v121, v108, v47
	v_fma_f16 v116, v117, 0x39e0, -v116
	v_fmac_f16_e32 v58, 0xb70e, v69
	v_fmamk_f16 v81, v104, 0xb574, v62
	v_fmamk_f16 v84, v100, 0xb574, v61
	v_add_f16_e32 v55, v55, v65
	v_add_f16_e32 v113, v116, v17
	v_fma_f16 v116, v120, 0xbb00, -v195
	v_add_f16_e32 v56, v56, v63
	v_fmac_f16_e32 v59, 0xb70e, v92
	v_fmac_f16_e32 v60, 0xb70e, v95
	v_sub_f16_e32 v114, v113, v118
	v_fmac_f16_e32 v116, 0xb70e, v121
	v_sub_f16_e32 v61, v53, v58
	v_add_f16_e32 v62, v57, v54
	v_add_f16_e32 v79, v79, v63
	;; [unrolled: 1-line block ×5, first 2 shown]
	v_pack_b32_f16 v61, v61, v62
	v_sub_f16_e32 v62, v55, v60
	v_sub_f16_e32 v54, v54, v57
	v_pack_b32_f16 v108, v108, v114
	v_add_nc_u32_e32 v114, 0x1600, v132
	v_add_f16_e32 v55, v60, v55
	v_sub_f16_e32 v56, v56, v59
	v_pack_b32_f16 v53, v53, v54
	v_add_f16_e32 v78, v78, v65
	ds_write2_b32 v114, v80, v108 offset0:111 offset1:160
	v_add_f16_e32 v108, v15, v41
	v_sub_f16_e32 v41, v15, v41
	v_add_f16_e32 v15, v11, v43
	v_sub_f16_e32 v11, v11, v43
	;; [unrolled: 2-line block ×5, first 2 shown]
	v_sub_f16_e32 v16, v15, v130
	v_add_f16_e32 v5, v44, v15
	v_sub_f16_e32 v13, v130, v44
	v_sub_f16_e32 v14, v108, v8
	;; [unrolled: 1-line block ×4, first 2 shown]
	v_add_f16_e32 v6, v130, v5
	v_add_f16_e32 v5, v43, v108
	v_mul_f16_e32 v130, 0x3a52, v14
	v_sub_f16_e32 v200, v41, v80
	v_sub_f16_e32 v201, v11, v131
	v_mul_f16_e32 v14, 0x3846, v21
	v_add_f16_e32 v7, v8, v5
	v_add_f16_sdwa v5, v6, v2 dst_sel:DWORD dst_unused:UNUSED_PAD src0_sel:DWORD src1_sel:WORD_1
	v_pack_b32_f16 v54, v55, v56
	v_sub_f16_e32 v55, v90, v89
	v_fmamk_f16 v206, v201, 0xb574, v14
	v_add_f16_e32 v2, v7, v2
	v_lshlrev_b32_e32 v10, 16, v5
	v_fmac_f16_e32 v5, 0xbcab, v6
	v_add_f16_e32 v6, v37, v39
	ds_write2_b32 v184, v53, v54 offset0:141 offset1:190
	v_sub_f16_e32 v53, v67, v66
	v_or_b32_sdwa v127, v10, v2 dst_sel:DWORD dst_unused:UNUSED_PAD src0_sel:DWORD src1_sel:WORD_0
	v_fmac_f16_e32 v2, 0xbcab, v7
	v_add_f16_e32 v10, v24, v6
	v_add_f16_e32 v6, v40, v122
	v_sub_f16_e32 v24, v24, v37
	v_add_f16_e32 v54, v64, v68
	v_add_f16_e32 v56, v88, v91
	v_fmac_f16_e32 v81, 0xb70e, v95
	v_add_f16_e32 v12, v38, v6
	v_add_f16_sdwa v6, v10, v0 dst_sel:DWORD dst_unused:UNUSED_PAD src0_sel:DWORD src1_sel:WORD_1
	v_fmac_f16_e32 v84, 0xb70e, v92
	v_pack_b32_f16 v53, v53, v54
	v_pack_b32_f16 v54, v55, v56
	v_add_f16_e32 v7, v12, v0
	v_lshlrev_b32_e32 v0, 16, v6
	v_fmac_f16_e32 v6, 0xbcab, v10
	v_add_f16_e32 v85, v81, v78
	v_sub_f16_e32 v86, v79, v84
	ds_write2_b32 v185, v53, v54 offset0:100 offset1:149
	v_or_b32_sdwa v0, v0, v7 dst_sel:DWORD dst_unused:UNUSED_PAD src0_sel:DWORD src1_sel:WORD_0
	v_fmac_f16_e32 v7, 0xbcab, v12
	v_sub_f16_e32 v12, v8, v43
	v_add_f16_e32 v8, v80, v114
	v_sub_f16_e32 v80, v122, v38
	v_sub_f16_e32 v53, v70, v72
	v_add_f16_e32 v54, v73, v71
	v_sub_f16_e32 v55, v78, v81
	v_add_f16_e32 v10, v8, v41
	v_add_f16_e32 v8, v131, v42
	v_mul_f16_e32 v131, 0x3a52, v16
	v_mul_f16_e32 v16, 0x3846, v18
	v_fmamk_f16 v18, v12, 0x2b26, v130
	v_mul_f16_e32 v202, 0x3a52, v80
	v_add_f16_e32 v8, v8, v11
	v_add_f16_e32 v56, v84, v79
	v_fmamk_f16 v207, v200, 0xb574, v16
	v_add_f16_e32 v204, v18, v2
	v_fmamk_f16 v18, v13, 0x2b26, v131
	v_fmac_f16_e32 v206, 0xb70e, v8
	v_pack_b32_f16 v85, v85, v86
	v_fmac_f16_e32 v207, 0xb70e, v10
	v_pack_b32_f16 v62, v62, v63
	v_add_f16_e32 v205, v18, v5
	v_sub_f16_e32 v18, v204, v206
	v_pack_b32_f16 v53, v53, v54
	v_pack_b32_f16 v54, v55, v56
	ds_write2_b32 v193, v75, v85 offset0:136 offset1:185
	v_add_f16_e32 v21, v207, v205
	ds_write2_b32 v183, v61, v62 offset0:54 offset1:103
	v_sub_f16_e32 v49, v49, v99
	v_sub_f16_e32 v29, v29, v50
	v_sub_f16_e32 v26, v26, v52
	v_pack_b32_f16 v136, v18, v21
	v_add_f16_e32 v18, v133, v126
	v_sub_f16_e32 v133, v134, v19
	v_sub_f16_e32 v21, v38, v40
	v_add_f16_e32 v38, v134, v19
	v_sub_f16_e32 v46, v47, v46
	v_add_f16_e32 v18, v18, v125
	v_mul_f16_e32 v198, 0x3846, v133
	v_fmamk_f16 v80, v21, 0x2b26, v202
	v_add_f16_e32 v38, v38, v20
	v_fmamk_f16 v133, v24, 0x2b26, v203
	v_fmac_f16_e32 v135, 0xb70e, v18
	v_fmamk_f16 v134, v209, 0xb574, v198
	v_add_f16_e32 v80, v80, v7
	v_mul_f16_e32 v47, 0x3a52, v49
	v_add_f16_e32 v133, v133, v6
	v_sub_f16_e32 v36, v48, v36
	v_fmac_f16_e32 v134, 0xb70e, v38
	v_fmamk_f16 v52, v29, 0xb574, v124
	v_fmamk_f16 v49, v110, 0x2b26, v47
	v_add_f16_e32 v138, v135, v133
	v_sub_f16_e32 v45, v101, v45
	v_sub_f16_e32 v137, v80, v134
	;; [unrolled: 1-line block ×3, first 2 shown]
	v_add_f16_e32 v49, v49, v9
	v_fmac_f16_e32 v52, 0xb70e, v30
	v_mul_f16_e32 v45, 0x3a52, v45
	v_pack_b32_f16 v137, v137, v138
	v_add_nc_u32_e32 v138, 0x2200, v132
	v_mul_f16_e32 v50, 0x3a52, v50
	v_fmamk_f16 v56, v46, 0xb574, v195
	v_fmamk_f16 v57, v36, 0xb574, v199
	v_sub_f16_e32 v11, v42, v11
	ds_write2_b32 v138, v136, v137 offset0:127 offset1:176
	ds_write2_b32 v182, v53, v54 offset0:59 offset1:108
	;; [unrolled: 1-line block ×3, first 2 shown]
	v_sub_f16_e32 v3, v98, v51
	v_fmamk_f16 v51, v26, 0xb574, v123
	v_sub_f16_e32 v54, v49, v52
	v_fmamk_f16 v55, v129, 0x2b26, v50
	v_fmac_f16_e32 v56, 0xb70e, v121
	v_mul_f16_e32 v3, 0x3a52, v3
	v_fmac_f16_e32 v51, 0xb70e, v33
	v_fmac_f16_e32 v57, 0xb70e, v111
	v_add_f16_e32 v55, v55, v17
	v_mul_f16_e32 v12, 0x2b26, v12
	v_fmamk_f16 v48, v109, 0x2b26, v3
	v_fma_f16 v3, v31, 0xb9e0, -v3
	v_fma_f16 v31, v32, 0xb9e0, -v47
	v_mul_f16_e32 v32, 0x3b00, v34
	v_sub_f16_e32 v59, v55, v57
	v_add_f16_e32 v48, v48, v4
	v_add_f16_e32 v3, v3, v4
	v_add_f16_e32 v4, v31, v9
	v_fmac_f16_e32 v32, 0x3574, v29
	v_mul_f16_e32 v29, 0x3b00, v35
	v_add_f16_e32 v53, v51, v48
	v_mul_f16_e32 v31, 0x3b00, v120
	v_fma_f16 v9, v115, 0xb9e0, -v45
	v_fmac_f16_e32 v32, 0xb70e, v30
	v_fmac_f16_e32 v29, 0x3574, v26
	v_mul_f16_e32 v30, 0x3b00, v119
	v_pack_b32_f16 v53, v53, v54
	v_fmamk_f16 v54, v128, 0x2b26, v45
	v_fma_f16 v26, v117, 0xb9e0, -v50
	v_fmac_f16_e32 v31, 0x3574, v46
	v_fmac_f16_e32 v30, 0x3574, v36
	;; [unrolled: 1-line block ×3, first 2 shown]
	v_add_f16_e32 v54, v54, v22
	v_add_f16_e32 v9, v9, v22
	;; [unrolled: 1-line block ×3, first 2 shown]
	v_fmac_f16_e32 v30, 0xb70e, v111
	v_fmac_f16_e32 v31, 0xb70e, v121
	v_add_f16_e32 v22, v29, v3
	v_sub_f16_e32 v26, v4, v32
	v_sub_f16_e32 v3, v3, v29
	;; [unrolled: 1-line block ×3, first 2 shown]
	v_add_f16_e32 v4, v32, v4
	v_add_f16_e32 v17, v30, v17
	v_pack_b32_f16 v22, v22, v26
	v_add_f16_e32 v26, v31, v9
	v_sub_f16_e32 v9, v9, v31
	v_pack_b32_f16 v3, v3, v4
	v_add_f16_e32 v58, v56, v54
	v_sub_f16_e32 v15, v44, v15
	v_pack_b32_f16 v26, v26, v33
	v_pack_b32_f16 v4, v9, v17
	v_sub_f16_e32 v9, v54, v56
	v_add_f16_e32 v17, v57, v55
	v_pack_b32_f16 v58, v58, v59
	ds_write2_b32 v186, v22, v26 offset0:65 offset1:114
	v_sub_f16_e32 v22, v23, v27
	v_add_f16_e32 v23, v28, v25
	v_sub_f16_e32 v25, v112, v116
	v_add_f16_e32 v26, v118, v113
	ds_write2_b32 v188, v3, v4 offset0:70 offset1:119
	v_sub_f16_e32 v3, v48, v51
	v_add_f16_e32 v4, v52, v49
	v_pack_b32_f16 v22, v22, v23
	v_pack_b32_f16 v23, v25, v26
	ds_write2_b32 v191, v53, v58 offset0:106 offset1:155
	v_sub_f16_e32 v19, v19, v20
	v_pack_b32_f16 v3, v3, v4
	v_pack_b32_f16 v4, v9, v17
	ds_write2_b32 v183, v22, v23 offset0:152 offset1:201
	ds_write2_b32 v182, v3, v4 offset0:157 offset1:206
	;; [unrolled: 1-line block ×3, first 2 shown]
	v_add_f16_e32 v1, v206, v204
	v_sub_f16_e32 v3, v205, v207
	v_add_f16_e32 v4, v134, v80
	v_sub_f16_e32 v9, v133, v135
	v_sub_f16_e32 v22, v126, v125
	v_mul_f16_e32 v23, 0x3b00, v11
	v_pack_b32_f16 v1, v1, v3
	v_sub_f16_e32 v3, v114, v41
	v_pack_b32_f16 v4, v4, v9
	v_sub_f16_e32 v9, v43, v108
	v_fmac_f16_e32 v23, 0x3574, v201
	v_sub_f16_e32 v25, v40, v122
	v_mul_f16_e32 v17, 0x3b00, v3
	v_fma_f16 v3, v3, 0xbb00, -v16
	v_fma_f16 v28, v9, 0xb9e0, -v130
	;; [unrolled: 1-line block ×3, first 2 shown]
	v_mul_f16_e32 v12, 0x2b26, v13
	v_fmac_f16_e32 v17, 0x3574, v200
	v_sub_f16_e32 v26, v37, v39
	v_mul_f16_e32 v20, 0x3b00, v22
	v_mul_f16_e32 v27, 0x3b00, v19
	v_fma_f16 v29, v15, 0xb9e0, -v131
	v_add_f16_e32 v28, v28, v2
	v_fmac_f16_e32 v17, 0xb70e, v10
	v_fma_f16 v12, v15, 0x39e0, -v12
	v_fma_f16 v11, v11, 0xbb00, -v14
	v_add_f16_e32 v2, v9, v2
	v_fmac_f16_e32 v3, 0xb70e, v10
	v_mul_f16_e32 v9, 0x2b26, v21
	v_mul_f16_e32 v10, 0x2b26, v24
	v_fmac_f16_e32 v20, 0x3574, v208
	v_fmac_f16_e32 v27, 0x3574, v209
	v_add_f16_e32 v29, v29, v5
	v_fmac_f16_e32 v23, 0xb70e, v8
	v_fma_f16 v13, v25, 0xb9e0, -v202
	v_fma_f16 v15, v26, 0xb9e0, -v203
	v_add_f16_e32 v5, v12, v5
	v_fma_f16 v9, v25, 0x39e0, -v9
	v_fma_f16 v10, v26, 0x39e0, -v10
	;; [unrolled: 1-line block ×4, first 2 shown]
	v_fmac_f16_e32 v11, 0xb70e, v8
	v_add_f16_e32 v30, v23, v28
	v_sub_f16_e32 v31, v29, v17
	v_add_f16_e32 v13, v13, v7
	v_add_f16_e32 v15, v15, v6
	v_fmac_f16_e32 v27, 0xb70e, v38
	v_fmac_f16_e32 v20, 0xb70e, v18
	v_add_f16_e32 v7, v9, v7
	v_add_f16_e32 v6, v10, v6
	v_fmac_f16_e32 v12, 0xb70e, v18
	v_fmac_f16_e32 v14, 0xb70e, v38
	v_sub_f16_e32 v8, v2, v11
	v_add_f16_e32 v9, v3, v5
	v_pack_b32_f16 v30, v30, v31
	v_add_f16_e32 v16, v27, v13
	v_sub_f16_e32 v31, v15, v20
	v_sub_f16_e32 v3, v5, v3
	v_pack_b32_f16 v8, v8, v9
	v_sub_f16_e32 v5, v7, v14
	v_add_f16_e32 v9, v12, v6
	v_add_f16_e32 v2, v11, v2
	;; [unrolled: 1-line block ×3, first 2 shown]
	v_sub_f16_e32 v6, v6, v12
	v_sub_f16_e32 v10, v28, v23
	v_add_f16_e32 v11, v17, v29
	v_sub_f16_e32 v12, v13, v27
	v_add_f16_e32 v13, v20, v15
	v_pack_b32_f16 v16, v16, v31
	v_pack_b32_f16 v5, v5, v9
	;; [unrolled: 1-line block ×6, first 2 shown]
	ds_write2_b32 v187, v1, v4 offset0:76 offset1:125
	ds_write2_b32 v186, v30, v16 offset0:163 offset1:212
	;; [unrolled: 1-line block ×5, first 2 shown]
	ds_write_b32 v132, v0 offset:1176
	s_waitcnt lgkmcnt(0)
	s_barrier
	buffer_gl0_inv
	buffer_load_dword v1, off, s[20:23], 0 offset:172 ; 4-byte Folded Reload
	ds_read2_b32 v[9:10], v132 offset1:49
	s_clause 0x4
	buffer_load_dword v7, off, s[20:23], 0 offset:148
	buffer_load_dword v8, off, s[20:23], 0 offset:152
	;; [unrolled: 1-line block ×5, first 2 shown]
	s_waitcnt lgkmcnt(0)
	v_lshrrev_b32_e32 v13, 16, v9
	s_waitcnt vmcnt(5)
	v_mul_f16_sdwa v0, v1, v9 dst_sel:DWORD dst_unused:UNUSED_PAD src0_sel:WORD_1 src1_sel:DWORD
	v_mov_b32_e32 v26, v1
	s_waitcnt vmcnt(4)
	v_mad_u64_u32 v[2:3], null, s10, v7, 0
	s_waitcnt vmcnt(2)
	v_mad_u64_u32 v[4:5], null, s8, v6, 0
	v_fma_f16 v0, v1, v13, -v0
	s_mul_i32 s10, s8, 0x55c
	v_cvt_f32_f16_e32 v0, v0
	v_cvt_f64_f32_e32 v[0:1], v0
	v_mul_f64 v[11:12], v[0:1], s[12:13]
	v_mad_u64_u32 v[0:1], null, s11, v7, v[3:4]
	v_mov_b32_e32 v1, v5
	v_mov_b32_e32 v3, v0
	v_mad_u64_u32 v[0:1], null, s9, v6, v[1:2]
	v_lshlrev_b64 v[1:2], 2, v[2:3]
	v_mov_b32_e32 v5, v0
	v_add_co_u32 v6, vcc_lo, s0, v1
	v_and_or_b32 v3, 0x1ff, v12, v11
	v_add_co_ci_u32_e32 v2, vcc_lo, s1, v2, vcc_lo
	v_lshlrev_b64 v[0:1], 2, v[4:5]
	v_lshrrev_b32_e32 v4, 8, v12
	v_cmp_ne_u32_e32 vcc_lo, 0, v3
	v_bfe_u32 v11, v12, 20, 11
	v_cndmask_b32_e64 v3, 0, 1, vcc_lo
	v_add_co_u32 v15, vcc_lo, v6, v0
	v_sub_nc_u32_e32 v0, 0x3f1, v11
	v_add_co_ci_u32_e32 v16, vcc_lo, v2, v1, vcc_lo
	v_and_or_b32 v17, 0xffe, v4, v3
	ds_read2_b32 v[4:5], v193 offset0:38 offset1:87
	v_med3_i32 v0, v0, 0, 13
	ds_read2_b32 v[6:7], v187 offset0:174 offset1:223
	v_add_nc_u32_e32 v11, 0xfffffc10, v11
	v_or_b32_e32 v1, 0x1000, v17
	v_lshrrev_b32_e32 v20, v0, v1
	v_lshlrev_b32_e32 v0, v0, v20
	v_cmp_ne_u32_e32 vcc_lo, v0, v1
	s_waitcnt lgkmcnt(1)
	v_lshrrev_b32_e32 v21, 16, v5
	v_mul_f16_sdwa v0, v211, v5 dst_sel:DWORD dst_unused:UNUSED_PAD src0_sel:WORD_1 src1_sel:DWORD
	s_waitcnt lgkmcnt(0)
	v_lshrrev_b32_e32 v8, 16, v6
	v_fma_f16 v0, v211, v21, -v0
	v_cvt_f32_f16_e32 v0, v0
	v_cvt_f64_f32_e32 v[0:1], v0
	v_mul_f64 v[18:19], v[0:1], s[12:13]
	v_and_or_b32 v0, 0x1ff, v19, v18
	v_lshrrev_b32_e32 v1, 8, v19
	v_bfe_u32 v23, v19, 20, 11
	v_lshrrev_b32_e32 v19, 16, v19
	v_cmp_ne_u32_e64 s0, 0, v0
	v_cndmask_b32_e64 v0, 0, 1, s0
	v_and_or_b32 v22, 0xffe, v1, v0
	v_sub_nc_u32_e32 v0, 0x3f1, v23
	v_add_nc_u32_e32 v23, 0xfffffc10, v23
	v_or_b32_e32 v1, 0x1000, v22
	v_med3_i32 v0, v0, 0, 13
	v_lshrrev_b32_e32 v24, v0, v1
	v_lshlrev_b32_e32 v0, v0, v24
	v_cmp_ne_u32_e64 s1, v0, v1
	v_mul_f16_sdwa v0, v215, v6 dst_sel:DWORD dst_unused:UNUSED_PAD src0_sel:WORD_1 src1_sel:DWORD
	v_fma_f16 v0, v215, v8, -v0
	v_cvt_f32_f16_e32 v0, v0
	v_cvt_f64_f32_e32 v[0:1], v0
	v_mul_f64 v[1:2], v[0:1], s[12:13]
	v_and_or_b32 v0, 0x1ff, v2, v1
	v_lshrrev_b32_e32 v1, 8, v2
	v_bfe_u32 v14, v2, 20, 11
	v_lshrrev_b32_e32 v2, 16, v2
	v_cmp_ne_u32_e64 s0, 0, v0
	v_cndmask_b32_e64 v0, 0, 1, s0
	v_and_or_b32 v3, 0xffe, v1, v0
	v_sub_nc_u32_e32 v0, 0x3f1, v14
	v_add_nc_u32_e32 v14, 0xfffffc10, v14
	v_or_b32_e32 v1, 0x1000, v3
	v_med3_i32 v0, v0, 0, 13
	v_lshrrev_b32_e32 v25, v0, v1
	v_lshlrev_b32_e32 v0, v0, v25
	v_cmp_ne_u32_e64 s0, v0, v1
	v_mul_f16_sdwa v0, v26, v13 dst_sel:DWORD dst_unused:UNUSED_PAD src0_sel:WORD_1 src1_sel:DWORD
	v_fmac_f16_e32 v0, v26, v9
	v_cvt_f32_f16_e32 v0, v0
	v_cvt_f64_f32_e32 v[0:1], v0
	v_mul_f64 v[0:1], v[0:1], s[12:13]
	v_and_or_b32 v0, 0x1ff, v1, v0
	v_lshrrev_b32_e32 v9, 8, v1
	v_cmp_ne_u32_e64 s2, 0, v0
	v_cndmask_b32_e64 v0, 0, 1, s2
	v_and_or_b32 v0, 0xffe, v9, v0
	v_bfe_u32 v9, v1, 20, 11
	v_lshrrev_b32_e32 v1, 16, v1
	v_or_b32_e32 v18, 0x1000, v0
	v_sub_nc_u32_e32 v13, 0x3f1, v9
	v_add_nc_u32_e32 v9, 0xfffffc10, v9
	v_cmp_ne_u32_e64 s4, 0, v0
	v_med3_i32 v13, v13, 0, 13
	v_lshrrev_b32_e32 v26, v13, v18
	v_lshlrev_b32_e32 v13, v13, v26
	v_cmp_ne_u32_e64 s2, v13, v18
	v_lshl_or_b32 v18, v9, 12, v0
	v_cndmask_b32_e64 v0, 0, 1, vcc_lo
	v_cmp_gt_i32_e32 vcc_lo, 1, v11
	v_cndmask_b32_e64 v13, 0, 1, s2
	v_cmp_gt_i32_e64 s2, 1, v9
	v_or_b32_e32 v0, v20, v0
	v_or_b32_e32 v13, v26, v13
	v_cndmask_b32_e64 v13, v18, v13, s2
	v_and_b32_e32 v18, 7, v13
	v_lshrrev_b32_e32 v13, 2, v13
	v_cmp_lt_i32_e64 s2, 5, v18
	v_cmp_eq_u32_e64 s3, 3, v18
	v_lshl_or_b32 v18, v11, 12, v17
	v_cndmask_b32_e32 v0, v18, v0, vcc_lo
	s_or_b32 vcc_lo, s3, s2
	v_cndmask_b32_e64 v18, 0, 1, s4
	v_add_co_ci_u32_e32 v13, vcc_lo, 0, v13, vcc_lo
	v_cmp_gt_i32_e32 vcc_lo, 31, v9
	v_cmp_ne_u32_e64 s3, 0, v17
	v_lshl_or_b32 v18, v18, 9, 0x7c00
	v_cndmask_b32_e32 v13, 0x7c00, v13, vcc_lo
	v_cmp_eq_u32_e32 vcc_lo, 0x40f, v9
	v_cndmask_b32_e32 v9, v13, v18, vcc_lo
	v_and_b32_e32 v13, 7, v0
	v_lshrrev_b32_e32 v0, 2, v0
	v_and_or_b32 v1, 0x8000, v1, v9
	v_cmp_lt_i32_e32 vcc_lo, 5, v13
	v_cmp_eq_u32_e64 s2, 3, v13
	v_cndmask_b32_e64 v13, 0, 1, s3
	v_and_b32_e32 v1, 0xffff, v1
	s_or_b32 vcc_lo, s2, vcc_lo
	v_lshl_or_b32 v13, v13, 9, 0x7c00
	v_add_co_ci_u32_e32 v0, vcc_lo, 0, v0, vcc_lo
	v_cmp_gt_i32_e32 vcc_lo, 31, v11
	s_mul_i32 s2, s9, 0x55c
	s_add_i32 s7, s7, s2
	v_cndmask_b32_e32 v0, 0x7c00, v0, vcc_lo
	v_cmp_eq_u32_e32 vcc_lo, 0x40f, v11
	v_lshrrev_b32_e32 v11, 16, v12
	v_cndmask_b32_e32 v0, v0, v13, vcc_lo
	v_and_or_b32 v0, 0x8000, v11, v0
	v_lshl_or_b32 v0, v0, 16, v1
	global_store_dword v[15:16], v0, off
	ds_read2_b32 v[0:1], v222 offset0:84 offset1:133
	v_add_co_u32 v15, vcc_lo, v15, s10
	v_add_co_ci_u32_e32 v16, vcc_lo, s7, v16, vcc_lo
	s_waitcnt lgkmcnt(0)
	v_lshrrev_b32_e32 v13, 16, v1
	s_waitcnt vmcnt(1)
	v_mul_f16_sdwa v9, v28, v1 dst_sel:DWORD dst_unused:UNUSED_PAD src0_sel:WORD_1 src1_sel:DWORD
	v_fma_f16 v9, v28, v13, -v9
	v_mul_f16_sdwa v13, v28, v13 dst_sel:DWORD dst_unused:UNUSED_PAD src0_sel:WORD_1 src1_sel:DWORD
	v_cvt_f32_f16_e32 v9, v9
	v_fmac_f16_e32 v13, v28, v1
	v_cvt_f64_f32_e32 v[11:12], v9
	v_cvt_f32_f16_e32 v1, v13
	v_mul_f64 v[11:12], v[11:12], s[12:13]
	v_and_or_b32 v9, 0x1ff, v12, v11
	v_lshrrev_b32_e32 v11, 8, v12
	v_bfe_u32 v17, v12, 20, 11
	v_cmp_ne_u32_e32 vcc_lo, 0, v9
	v_cndmask_b32_e64 v9, 0, 1, vcc_lo
	v_and_or_b32 v11, 0xffe, v11, v9
	v_sub_nc_u32_e32 v9, 0x3f1, v17
	v_or_b32_e32 v20, 0x1000, v11
	v_med3_i32 v9, v9, 0, 13
	v_lshrrev_b32_e32 v18, v9, v20
	v_lshlrev_b32_e32 v9, v9, v18
	v_cmp_ne_u32_e32 vcc_lo, v9, v20
	v_mul_f16_sdwa v9, v211, v21 dst_sel:DWORD dst_unused:UNUSED_PAD src0_sel:WORD_1 src1_sel:DWORD
	v_fmac_f16_e32 v9, v211, v5
	v_cvt_f32_f16_e32 v5, v9
	v_cvt_f64_f32_e32 v[20:21], v5
	v_mul_f64 v[20:21], v[20:21], s[12:13]
	v_and_or_b32 v5, 0x1ff, v21, v20
	v_lshrrev_b32_e32 v9, 8, v21
	v_cmp_ne_u32_e64 s2, 0, v5
	v_cndmask_b32_e64 v5, 0, 1, s2
	v_and_or_b32 v5, 0xffe, v9, v5
	v_bfe_u32 v9, v21, 20, 11
	v_or_b32_e32 v26, 0x1000, v5
	v_sub_nc_u32_e32 v20, 0x3f1, v9
	v_add_nc_u32_e32 v9, 0xfffffc10, v9
	v_cmp_ne_u32_e64 s4, 0, v5
	v_med3_i32 v20, v20, 0, 13
	v_lshrrev_b32_e32 v27, v20, v26
	v_lshlrev_b32_e32 v20, v20, v27
	v_cmp_ne_u32_e64 s2, v20, v26
	v_lshl_or_b32 v26, v9, 12, v5
	v_cndmask_b32_e64 v5, 0, 1, s1
	v_cmp_gt_i32_e64 s1, 1, v23
	v_cndmask_b32_e64 v20, 0, 1, s2
	v_cmp_gt_i32_e64 s2, 1, v9
	v_or_b32_e32 v5, v24, v5
	v_lshl_or_b32 v24, v23, 12, v22
	v_or_b32_e32 v20, v27, v20
	v_cndmask_b32_e64 v5, v24, v5, s1
	v_cndmask_b32_e64 v24, 0, 1, s4
	;; [unrolled: 1-line block ×3, first 2 shown]
	v_lshl_or_b32 v24, v24, 9, 0x7c00
	v_and_b32_e32 v26, 7, v20
	v_lshrrev_b32_e32 v20, 2, v20
	v_cmp_lt_i32_e64 s2, 5, v26
	v_cmp_eq_u32_e64 s3, 3, v26
	s_or_b32 s1, s3, s2
	v_cmp_ne_u32_e64 s3, 0, v22
	v_add_co_ci_u32_e64 v20, s1, 0, v20, s1
	v_cmp_gt_i32_e64 s1, 31, v9
	v_cndmask_b32_e64 v20, 0x7c00, v20, s1
	v_cmp_eq_u32_e64 s1, 0x40f, v9
	v_cndmask_b32_e64 v9, v20, v24, s1
	v_lshrrev_b32_e32 v20, 16, v21
	v_and_b32_e32 v21, 7, v5
	v_lshrrev_b32_e32 v5, 2, v5
	v_and_or_b32 v9, 0x8000, v20, v9
	v_cmp_lt_i32_e64 s1, 5, v21
	v_cmp_eq_u32_e64 s2, 3, v21
	v_cndmask_b32_e64 v21, 0, 1, s3
	v_and_b32_e32 v9, 0xffff, v9
	s_or_b32 s1, s2, s1
	v_lshl_or_b32 v21, v21, 9, 0x7c00
	v_add_co_ci_u32_e64 v5, s1, 0, v5, s1
	v_cmp_gt_i32_e64 s1, 31, v23
	v_cndmask_b32_e64 v5, 0x7c00, v5, s1
	v_cmp_eq_u32_e64 s1, 0x40f, v23
	v_cndmask_b32_e64 v5, v5, v21, s1
	v_and_or_b32 v5, 0x8000, v19, v5
	v_lshl_or_b32 v5, v5, 16, v9
	global_store_dword v[15:16], v5, off
	v_mul_f16_sdwa v5, v215, v8 dst_sel:DWORD dst_unused:UNUSED_PAD src0_sel:WORD_1 src1_sel:DWORD
	v_add_co_u32 v15, s1, v15, s10
	v_add_co_ci_u32_e64 v16, s1, s7, v16, s1
	v_fmac_f16_e32 v5, v215, v6
	v_cvt_f32_f16_e32 v5, v5
	v_cvt_f64_f32_e32 v[5:6], v5
	v_mul_f64 v[5:6], v[5:6], s[12:13]
	v_and_or_b32 v5, 0x1ff, v6, v5
	v_lshrrev_b32_e32 v8, 8, v6
	v_cmp_ne_u32_e64 s1, 0, v5
	v_cndmask_b32_e64 v5, 0, 1, s1
	v_and_or_b32 v5, 0xffe, v8, v5
	v_bfe_u32 v8, v6, 20, 11
	v_lshrrev_b32_e32 v6, 16, v6
	v_or_b32_e32 v19, 0x1000, v5
	v_sub_nc_u32_e32 v9, 0x3f1, v8
	v_add_nc_u32_e32 v8, 0xfffffc10, v8
	v_cmp_ne_u32_e64 s2, 0, v5
	v_med3_i32 v9, v9, 0, 13
	v_lshrrev_b32_e32 v20, v9, v19
	v_lshlrev_b32_e32 v9, v9, v20
	v_cmp_ne_u32_e64 s1, v9, v19
	v_lshl_or_b32 v19, v8, 12, v5
	v_cndmask_b32_e64 v9, 0, 1, s1
	v_cmp_gt_i32_e64 s1, 1, v8
	v_or_b32_e32 v9, v20, v9
	v_lshl_or_b32 v20, v14, 12, v3
	v_cndmask_b32_e64 v9, v19, v9, s1
	v_cndmask_b32_e64 v19, 0, 1, s0
	v_cmp_gt_i32_e64 s0, 1, v14
	v_or_b32_e32 v19, v25, v19
	v_cndmask_b32_e64 v19, v20, v19, s0
	v_and_b32_e32 v20, 7, v9
	v_and_b32_e32 v5, 7, v19
	v_cmp_lt_i32_e64 s0, 5, v20
	v_cmp_eq_u32_e64 s1, 3, v20
	v_cmp_lt_i32_e64 s3, 5, v5
	v_cmp_eq_u32_e64 s4, 3, v5
	v_lshrrev_b32_e32 v5, 2, v9
	s_or_b32 s0, s1, s0
	v_cndmask_b32_e64 v9, 0, 1, s2
	s_or_b32 s1, s4, s3
	v_add_co_ci_u32_e64 v5, s0, 0, v5, s0
	v_cmp_gt_i32_e64 s0, 31, v8
	v_lshl_or_b32 v9, v9, 9, 0x7c00
	v_cndmask_b32_e64 v5, 0x7c00, v5, s0
	v_cmp_eq_u32_e64 s0, 0x40f, v8
	v_cndmask_b32_e64 v5, v5, v9, s0
	v_cmp_ne_u32_e64 s0, 0, v3
	v_lshrrev_b32_e32 v3, 2, v19
	v_and_or_b32 v5, 0x8000, v6, v5
	v_cndmask_b32_e64 v8, 0, 1, s0
	v_add_co_ci_u32_e64 v3, s1, 0, v3, s1
	v_cmp_gt_i32_e64 s1, 31, v14
	v_cmp_eq_u32_e64 s0, 0x40f, v14
	v_lshl_or_b32 v8, v8, 9, 0x7c00
	v_cndmask_b32_e64 v3, 0x7c00, v3, s1
	v_cndmask_b32_e64 v3, v3, v8, s0
	ds_read2_b32 v[8:9], v184 offset0:92 offset1:141
	v_add_co_u32 v21, s0, v15, s10
	v_add_co_ci_u32_e64 v22, s0, s7, v16, s0
	v_and_or_b32 v2, 0x8000, v2, v3
	v_and_b32_e32 v3, 0xffff, v5
	v_lshl_or_b32 v2, v2, 16, v3
	buffer_load_dword v3, off, s[20:23], 0 offset:168 ; 4-byte Folded Reload
	global_store_dword v[15:16], v2, off
	s_waitcnt lgkmcnt(0)
	v_lshrrev_b32_e32 v24, 16, v8
	s_waitcnt vmcnt(0)
	v_mul_f16_sdwa v2, v3, v8 dst_sel:DWORD dst_unused:UNUSED_PAD src0_sel:WORD_1 src1_sel:DWORD
	v_mov_b32_e32 v30, v3
	v_fma_f16 v2, v3, v24, -v2
	v_cvt_f32_f16_e32 v2, v2
	v_cvt_f64_f32_e32 v[2:3], v2
	v_mul_f64 v[14:15], v[2:3], s[12:13]
	v_and_or_b32 v2, 0x1ff, v15, v14
	v_lshrrev_b32_e32 v3, 8, v15
	v_bfe_u32 v25, v15, 20, 11
	v_lshrrev_b32_e32 v15, 16, v15
	v_cmp_ne_u32_e64 s0, 0, v2
	v_cndmask_b32_e64 v2, 0, 1, s0
	v_and_or_b32 v19, 0xffe, v3, v2
	v_sub_nc_u32_e32 v2, 0x3f1, v25
	v_or_b32_e32 v3, 0x1000, v19
	v_med3_i32 v2, v2, 0, 13
	v_lshrrev_b32_e32 v26, v2, v3
	v_lshlrev_b32_e32 v2, v2, v26
	v_cmp_ne_u32_e64 s2, v2, v3
	ds_read2_b32 v[2:3], v192 offset0:130 offset1:179
	s_waitcnt lgkmcnt(0)
	v_lshrrev_b32_e32 v16, 16, v3
	v_mul_f16_sdwa v5, v33, v3 dst_sel:DWORD dst_unused:UNUSED_PAD src0_sel:WORD_1 src1_sel:DWORD
	v_fma_f16 v5, v33, v16, -v5
	v_cvt_f32_f16_e32 v5, v5
	v_cvt_f64_f32_e32 v[5:6], v5
	v_mul_f64 v[5:6], v[5:6], s[12:13]
	v_and_or_b32 v5, 0x1ff, v6, v5
	v_lshrrev_b32_e32 v14, 8, v6
	v_bfe_u32 v20, v6, 20, 11
	v_cmp_ne_u32_e64 s0, 0, v5
	v_cndmask_b32_e64 v5, 0, 1, s0
	v_and_or_b32 v5, 0xffe, v14, v5
	v_sub_nc_u32_e32 v14, 0x3f1, v20
	v_or_b32_e32 v23, 0x1000, v5
	v_med3_i32 v14, v14, 0, 13
	v_lshrrev_b32_e32 v27, v14, v23
	v_lshlrev_b32_e32 v14, v14, v27
	v_cmp_ne_u32_e64 s0, v14, v23
	v_cvt_f64_f32_e32 v[13:14], v1
	v_mul_f64 v[13:14], v[13:14], s[12:13]
	v_and_or_b32 v1, 0x1ff, v14, v13
	v_lshrrev_b32_e32 v13, 8, v14
	v_cmp_ne_u32_e64 s1, 0, v1
	v_cndmask_b32_e64 v1, 0, 1, s1
	v_and_or_b32 v1, 0xffe, v13, v1
	v_bfe_u32 v13, v14, 20, 11
	v_lshrrev_b32_e32 v14, 16, v14
	v_or_b32_e32 v28, 0x1000, v1
	v_sub_nc_u32_e32 v23, 0x3f1, v13
	v_add_nc_u32_e32 v13, 0xfffffc10, v13
	v_med3_i32 v23, v23, 0, 13
	v_lshrrev_b32_e32 v29, v23, v28
	v_lshlrev_b32_e32 v23, v23, v29
	v_cmp_ne_u32_e64 s1, v23, v28
	v_lshl_or_b32 v28, v13, 12, v1
	v_cndmask_b32_e64 v23, 0, 1, s1
	v_cmp_gt_i32_e64 s1, 1, v13
	v_or_b32_e32 v23, v29, v23
	v_cndmask_b32_e64 v23, v28, v23, s1
	v_and_b32_e32 v28, 7, v23
	v_cmp_lt_i32_e64 s1, 5, v28
	v_cmp_eq_u32_e64 s3, 3, v28
	v_cndmask_b32_e64 v28, 0, 1, vcc_lo
	v_cmp_ne_u32_e32 vcc_lo, 0, v1
	v_add_nc_u32_e32 v1, 0xfffffc10, v17
	s_or_b32 s1, s3, s1
	v_or_b32_e32 v18, v18, v28
	v_cmp_ne_u32_e64 s3, 0, v11
	v_lshl_or_b32 v17, v1, 12, v11
	v_cmp_gt_i32_e64 s4, 1, v1
	v_cndmask_b32_e64 v17, v17, v18, s4
	v_lshrrev_b32_e32 v18, 2, v23
	v_cndmask_b32_e64 v23, 0, 1, vcc_lo
	v_cmp_eq_u32_e32 vcc_lo, 0x40f, v13
	v_lshrrev_b32_e32 v11, 2, v17
	v_add_co_ci_u32_e64 v18, s1, 0, v18, s1
	v_cmp_gt_i32_e64 s1, 31, v13
	v_lshl_or_b32 v23, v23, 9, 0x7c00
	v_cndmask_b32_e64 v18, 0x7c00, v18, s1
	v_cndmask_b32_e32 v13, v18, v23, vcc_lo
	v_and_b32_e32 v18, 7, v17
	v_cndmask_b32_e64 v17, 0, 1, s3
	v_cmp_lt_i32_e32 vcc_lo, 5, v18
	v_cmp_eq_u32_e64 s1, 3, v18
	v_lshl_or_b32 v17, v17, 9, 0x7c00
	s_or_b32 vcc_lo, s1, vcc_lo
	v_add_co_ci_u32_e32 v11, vcc_lo, 0, v11, vcc_lo
	v_cmp_gt_i32_e32 vcc_lo, 31, v1
	v_cndmask_b32_e32 v11, 0x7c00, v11, vcc_lo
	v_cmp_eq_u32_e32 vcc_lo, 0x40f, v1
	v_cndmask_b32_e32 v1, v11, v17, vcc_lo
	v_lshrrev_b32_e32 v11, 16, v12
	v_and_or_b32 v12, 0x8000, v14, v13
	buffer_load_dword v13, off, s[20:23], 0 offset:156 ; 4-byte Folded Reload
	v_add_co_u32 v17, vcc_lo, v21, s10
	v_and_or_b32 v1, 0x8000, v11, v1
	v_and_b32_e32 v11, 0xffff, v12
	buffer_load_dword v12, off, s[20:23], 0 offset:160 ; 4-byte Folded Reload
	v_add_co_ci_u32_e32 v18, vcc_lo, s7, v22, vcc_lo
	v_lshl_or_b32 v1, v1, 16, v11
	v_lshrrev_b32_e32 v11, 16, v10
	global_store_dword v[21:22], v1, off
	s_waitcnt vmcnt(1)
	v_mov_b32_e32 v32, v13
	s_waitcnt vmcnt(0)
	v_mul_f16_sdwa v1, v12, v11 dst_sel:DWORD dst_unused:UNUSED_PAD src0_sel:WORD_1 src1_sel:DWORD
	v_fmac_f16_e32 v1, v12, v10
	v_mul_f16_sdwa v10, v12, v10 dst_sel:DWORD dst_unused:UNUSED_PAD src0_sel:WORD_1 src1_sel:DWORD
	v_cvt_f32_f16_e32 v1, v1
	v_fma_f16 v28, v12, v11, -v10
	ds_read2_b32 v[10:11], v182 offset0:10 offset1:59
	s_waitcnt lgkmcnt(0)
	v_lshrrev_b32_e32 v29, 16, v10
	v_mul_f16_sdwa v12, v13, v10 dst_sel:DWORD dst_unused:UNUSED_PAD src0_sel:WORD_1 src1_sel:DWORD
	v_fma_f16 v12, v13, v29, -v12
	v_cvt_f32_f16_e32 v12, v12
	v_cvt_f64_f32_e32 v[12:13], v12
	v_mul_f64 v[13:14], v[12:13], s[12:13]
	v_and_or_b32 v12, 0x1ff, v14, v13
	v_lshrrev_b32_e32 v13, 8, v14
	v_bfe_u32 v22, v14, 20, 11
	v_lshrrev_b32_e32 v14, 16, v14
	v_cmp_ne_u32_e32 vcc_lo, 0, v12
	v_cndmask_b32_e64 v12, 0, 1, vcc_lo
	v_and_or_b32 v21, 0xffe, v13, v12
	v_sub_nc_u32_e32 v12, 0x3f1, v22
	v_or_b32_e32 v13, 0x1000, v21
	v_med3_i32 v12, v12, 0, 13
	v_lshrrev_b32_e32 v23, v12, v13
	v_lshlrev_b32_e32 v12, v12, v23
	v_cmp_ne_u32_e64 s1, v12, v13
	v_mul_f16_sdwa v12, v30, v24 dst_sel:DWORD dst_unused:UNUSED_PAD src0_sel:WORD_1 src1_sel:DWORD
	v_fmac_f16_e32 v12, v30, v8
	v_cvt_f32_f16_e32 v8, v12
	v_cvt_f64_f32_e32 v[12:13], v8
	v_mul_f64 v[12:13], v[12:13], s[12:13]
	v_and_or_b32 v8, 0x1ff, v13, v12
	v_lshrrev_b32_e32 v12, 8, v13
	v_cmp_ne_u32_e32 vcc_lo, 0, v8
	v_cndmask_b32_e64 v8, 0, 1, vcc_lo
	v_and_or_b32 v8, 0xffe, v12, v8
	v_bfe_u32 v12, v13, 20, 11
	v_lshrrev_b32_e32 v13, 16, v13
	v_or_b32_e32 v30, 0x1000, v8
	v_sub_nc_u32_e32 v24, 0x3f1, v12
	v_add_nc_u32_e32 v12, 0xfffffc10, v12
	v_med3_i32 v24, v24, 0, 13
	v_lshrrev_b32_e32 v31, v24, v30
	v_lshlrev_b32_e32 v24, v24, v31
	v_cmp_ne_u32_e32 vcc_lo, v24, v30
	v_lshl_or_b32 v30, v12, 12, v8
	v_cndmask_b32_e64 v24, 0, 1, vcc_lo
	v_cmp_gt_i32_e32 vcc_lo, 1, v12
	v_or_b32_e32 v24, v31, v24
	v_cndmask_b32_e32 v24, v30, v24, vcc_lo
	v_and_b32_e32 v30, 7, v24
	v_lshrrev_b32_e32 v24, 2, v24
	v_cmp_lt_i32_e32 vcc_lo, 5, v30
	v_cmp_eq_u32_e64 s3, 3, v30
	v_cndmask_b32_e64 v30, 0, 1, s2
	v_cmp_ne_u32_e64 s2, 0, v8
	v_add_nc_u32_e32 v8, 0xfffffc10, v25
	s_or_b32 vcc_lo, s3, vcc_lo
	v_or_b32_e32 v26, v26, v30
	v_add_co_ci_u32_e32 v24, vcc_lo, 0, v24, vcc_lo
	v_lshl_or_b32 v25, v8, 12, v19
	v_cmp_gt_i32_e64 s4, 1, v8
	v_cmp_gt_i32_e32 vcc_lo, 31, v12
	v_cmp_ne_u32_e64 s3, 0, v19
	v_cndmask_b32_e64 v25, v25, v26, s4
	v_cndmask_b32_e64 v26, 0, 1, s2
	v_cndmask_b32_e32 v24, 0x7c00, v24, vcc_lo
	v_cmp_eq_u32_e32 vcc_lo, 0x40f, v12
	v_lshrrev_b32_e32 v19, 2, v25
	v_lshl_or_b32 v26, v26, 9, 0x7c00
	v_cndmask_b32_e32 v12, v24, v26, vcc_lo
	v_and_b32_e32 v24, 7, v25
	v_and_or_b32 v12, 0x8000, v13, v12
	v_cmp_lt_i32_e32 vcc_lo, 5, v24
	v_cmp_eq_u32_e64 s2, 3, v24
	v_cndmask_b32_e64 v24, 0, 1, s3
	v_and_b32_e32 v12, 0xffff, v12
	s_or_b32 vcc_lo, s2, vcc_lo
	v_lshl_or_b32 v24, v24, 9, 0x7c00
	v_add_co_ci_u32_e32 v19, vcc_lo, 0, v19, vcc_lo
	v_cmp_gt_i32_e32 vcc_lo, 31, v8
	v_cndmask_b32_e32 v19, 0x7c00, v19, vcc_lo
	v_cmp_eq_u32_e32 vcc_lo, 0x40f, v8
	v_cndmask_b32_e32 v8, v19, v24, vcc_lo
	v_add_co_u32 v24, vcc_lo, v17, s10
	v_add_co_ci_u32_e32 v25, vcc_lo, s7, v18, vcc_lo
	v_and_or_b32 v8, 0x8000, v15, v8
	v_lshl_or_b32 v8, v8, 16, v12
	global_store_dword v[17:18], v8, off
	v_cvt_f32_f16_e32 v8, v28
	v_cvt_f64_f32_e32 v[12:13], v8
	v_mul_f64 v[12:13], v[12:13], s[12:13]
	v_and_or_b32 v8, 0x1ff, v13, v12
	v_lshrrev_b32_e32 v12, 8, v13
	v_bfe_u32 v17, v13, 20, 11
	v_lshrrev_b32_e32 v13, 16, v13
	v_cmp_ne_u32_e32 vcc_lo, 0, v8
	v_cndmask_b32_e64 v8, 0, 1, vcc_lo
	v_and_or_b32 v8, 0xffe, v12, v8
	v_sub_nc_u32_e32 v12, 0x3f1, v17
	v_add_nc_u32_e32 v17, 0xfffffc10, v17
	v_or_b32_e32 v15, 0x1000, v8
	v_med3_i32 v12, v12, 0, 13
	v_lshrrev_b32_e32 v19, v12, v15
	v_lshlrev_b32_e32 v12, v12, v19
	v_cmp_ne_u32_e32 vcc_lo, v12, v15
	v_mul_f16_sdwa v12, v33, v16 dst_sel:DWORD dst_unused:UNUSED_PAD src0_sel:WORD_1 src1_sel:DWORD
	v_fmac_f16_e32 v12, v33, v3
	v_cvt_f32_f16_e32 v3, v12
	v_cvt_f64_f32_e32 v[15:16], v3
	v_mul_f64 v[15:16], v[15:16], s[12:13]
	v_and_or_b32 v3, 0x1ff, v16, v15
	v_lshrrev_b32_e32 v12, 8, v16
	v_cmp_ne_u32_e64 s2, 0, v3
	v_cndmask_b32_e64 v3, 0, 1, s2
	v_and_or_b32 v3, 0xffe, v12, v3
	v_bfe_u32 v12, v16, 20, 11
	v_or_b32_e32 v18, 0x1000, v3
	v_sub_nc_u32_e32 v15, 0x3f1, v12
	v_add_nc_u32_e32 v12, 0xfffffc10, v12
	v_cmp_ne_u32_e64 s4, 0, v3
	v_med3_i32 v15, v15, 0, 13
	v_lshrrev_b32_e32 v26, v15, v18
	v_lshlrev_b32_e32 v15, v15, v26
	v_cmp_ne_u32_e64 s2, v15, v18
	v_lshl_or_b32 v18, v12, 12, v3
	v_cndmask_b32_e64 v3, 0, 1, s0
	v_cndmask_b32_e64 v15, 0, 1, s2
	v_cmp_gt_i32_e64 s2, 1, v12
	v_or_b32_e32 v3, v27, v3
	v_or_b32_e32 v15, v26, v15
	v_cndmask_b32_e64 v15, v18, v15, s2
	v_and_b32_e32 v18, 7, v15
	v_lshrrev_b32_e32 v15, 2, v15
	v_cmp_lt_i32_e64 s2, 5, v18
	v_cmp_eq_u32_e64 s3, 3, v18
	v_add_nc_u32_e32 v18, 0xfffffc10, v20
	v_lshl_or_b32 v20, v18, 12, v5
	v_cmp_gt_i32_e64 s0, 1, v18
	v_cndmask_b32_e64 v3, v20, v3, s0
	s_or_b32 s0, s3, s2
	v_cndmask_b32_e64 v20, 0, 1, s4
	v_add_co_ci_u32_e64 v15, s0, 0, v15, s0
	v_cmp_gt_i32_e64 s0, 31, v12
	v_cmp_ne_u32_e64 s3, 0, v5
	v_lshl_or_b32 v20, v20, 9, 0x7c00
	v_cndmask_b32_e64 v15, 0x7c00, v15, s0
	v_cmp_eq_u32_e64 s0, 0x40f, v12
	v_cndmask_b32_e64 v5, 0, 1, s3
	v_cndmask_b32_e64 v12, v15, v20, s0
	v_lshrrev_b32_e32 v15, 16, v16
	v_and_b32_e32 v16, 7, v3
	v_lshrrev_b32_e32 v3, 2, v3
	v_lshl_or_b32 v5, v5, 9, 0x7c00
	v_cmp_lt_i32_e64 s0, 5, v16
	v_cmp_eq_u32_e64 s2, 3, v16
	s_or_b32 s0, s2, s0
	v_add_co_ci_u32_e64 v3, s0, 0, v3, s0
	v_cmp_gt_i32_e64 s0, 31, v18
	v_cndmask_b32_e64 v3, 0x7c00, v3, s0
	v_cmp_eq_u32_e64 s0, 0x40f, v18
	v_cndmask_b32_e64 v3, v3, v5, s0
	v_lshrrev_b32_e32 v5, 16, v6
	v_and_or_b32 v6, 0x8000, v15, v12
	v_and_or_b32 v3, 0x8000, v5, v3
	v_and_b32_e32 v5, 0xffff, v6
	v_lshl_or_b32 v3, v3, 16, v5
	ds_read2_b32 v[5:6], v193 offset0:136 offset1:185
	global_store_dword v[24:25], v3, off
	v_add_co_u32 v24, s0, v24, s10
	v_add_co_ci_u32_e64 v25, s0, s7, v25, s0
	s_waitcnt lgkmcnt(0)
	v_lshrrev_b32_e32 v3, 16, v5
	v_mul_f16_sdwa v12, v194, v5 dst_sel:DWORD dst_unused:UNUSED_PAD src0_sel:WORD_1 src1_sel:DWORD
	v_fma_f16 v28, v194, v3, -v12
	v_mul_f16_sdwa v3, v194, v3 dst_sel:DWORD dst_unused:UNUSED_PAD src0_sel:WORD_1 src1_sel:DWORD
	v_fmac_f16_e32 v3, v194, v5
	v_cvt_f32_f16_e32 v3, v3
	v_cvt_f64_f32_e32 v[15:16], v3
	v_mul_f64 v[15:16], v[15:16], s[12:13]
	v_and_or_b32 v3, 0x1ff, v16, v15
	v_lshrrev_b32_e32 v5, 8, v16
	v_bfe_u32 v18, v16, 20, 11
	v_lshrrev_b32_e32 v16, 16, v16
	v_cmp_ne_u32_e64 s0, 0, v3
	v_cndmask_b32_e64 v3, 0, 1, s0
	v_and_or_b32 v12, 0xffe, v5, v3
	v_sub_nc_u32_e32 v3, 0x3f1, v18
	v_add_nc_u32_e32 v18, 0xfffffc10, v18
	v_or_b32_e32 v5, 0x1000, v12
	v_med3_i32 v3, v3, 0, 13
	v_lshrrev_b32_e32 v20, v3, v5
	v_lshlrev_b32_e32 v3, v3, v20
	v_cmp_ne_u32_e64 s0, v3, v5
	v_lshrrev_b32_e32 v5, 16, v7
	v_mul_f16_sdwa v3, v197, v5 dst_sel:DWORD dst_unused:UNUSED_PAD src0_sel:WORD_1 src1_sel:DWORD
	v_fmac_f16_e32 v3, v197, v7
	v_mul_f16_sdwa v7, v197, v7 dst_sel:DWORD dst_unused:UNUSED_PAD src0_sel:WORD_1 src1_sel:DWORD
	v_cvt_f32_f16_e32 v3, v3
	v_fma_f16 v5, v197, v5, -v7
	v_mul_f16_sdwa v7, v32, v29 dst_sel:DWORD dst_unused:UNUSED_PAD src0_sel:WORD_1 src1_sel:DWORD
	v_cvt_f32_f16_e32 v5, v5
	v_fmac_f16_e32 v7, v32, v10
	v_cvt_f32_f16_e32 v7, v7
	v_cvt_f64_f32_e32 v[26:27], v7
	v_mul_f64 v[26:27], v[26:27], s[12:13]
	v_and_or_b32 v7, 0x1ff, v27, v26
	v_lshrrev_b32_e32 v10, 8, v27
	v_cmp_ne_u32_e64 s2, 0, v7
	v_cndmask_b32_e64 v7, 0, 1, s2
	v_and_or_b32 v7, 0xffe, v10, v7
	v_bfe_u32 v10, v27, 20, 11
	v_or_b32_e32 v26, 0x1000, v7
	v_sub_nc_u32_e32 v15, 0x3f1, v10
	v_add_nc_u32_e32 v10, 0xfffffc10, v10
	v_med3_i32 v15, v15, 0, 13
	v_lshrrev_b32_e32 v29, v15, v26
	v_lshlrev_b32_e32 v15, v15, v29
	v_cmp_ne_u32_e64 s2, v15, v26
	v_lshl_or_b32 v26, v10, 12, v7
	v_cndmask_b32_e64 v15, 0, 1, s2
	v_cmp_gt_i32_e64 s2, 1, v10
	v_or_b32_e32 v15, v29, v15
	v_cndmask_b32_e64 v15, v26, v15, s2
	v_and_b32_e32 v26, 7, v15
	v_lshrrev_b32_e32 v15, 2, v15
	v_cmp_lt_i32_e64 s2, 5, v26
	v_cmp_eq_u32_e64 s3, 3, v26
	v_cndmask_b32_e64 v26, 0, 1, s1
	v_cmp_ne_u32_e64 s1, 0, v7
	v_add_nc_u32_e32 v7, 0xfffffc10, v22
	s_or_b32 s2, s3, s2
	v_or_b32_e32 v23, v23, v26
	v_add_co_ci_u32_e64 v15, s2, 0, v15, s2
	v_lshl_or_b32 v22, v7, 12, v21
	v_cmp_gt_i32_e64 s4, 1, v7
	v_cmp_gt_i32_e64 s2, 31, v10
	v_cmp_ne_u32_e64 s3, 0, v21
	v_cndmask_b32_e64 v22, v22, v23, s4
	v_cndmask_b32_e64 v23, 0, 1, s1
	v_cndmask_b32_e64 v15, 0x7c00, v15, s2
	v_cmp_eq_u32_e64 s1, 0x40f, v10
	v_lshrrev_b32_e32 v21, 2, v22
	v_lshl_or_b32 v23, v23, 9, 0x7c00
	v_cndmask_b32_e64 v10, v15, v23, s1
	v_and_b32_e32 v15, 7, v22
	v_cndmask_b32_e64 v22, 0, 1, s3
	v_cmp_lt_i32_e64 s1, 5, v15
	v_cmp_eq_u32_e64 s2, 3, v15
	v_lshrrev_b32_e32 v15, 16, v27
	v_lshl_or_b32 v22, v22, 9, 0x7c00
	s_or_b32 s1, s2, s1
	v_and_or_b32 v10, 0x8000, v15, v10
	v_add_co_ci_u32_e64 v21, s1, 0, v21, s1
	v_cmp_gt_i32_e64 s1, 31, v7
	s_mul_i32 s2, s9, 0xffffe09c
	v_and_b32_e32 v10, 0xffff, v10
	v_cndmask_b32_e64 v21, 0x7c00, v21, s1
	v_cmp_eq_u32_e64 s1, 0x40f, v7
	v_cndmask_b32_e64 v7, v21, v22, s1
	s_mul_hi_u32 s1, s8, 0xffffe09c
	s_sub_i32 s9, s1, s8
	s_mulk_i32 s8, 0xe09c
	v_and_or_b32 v7, 0x8000, v14, v7
	v_add_co_u32 v21, s1, v24, s8
	s_add_i32 s9, s9, s2
	v_lshl_or_b32 v7, v7, 16, v10
	v_add_co_ci_u32_e64 v22, s1, s9, v25, s1
	global_store_dword v[24:25], v7, off
	v_cvt_f32_f16_e32 v7, v28
	v_cvt_f64_f32_e32 v[14:15], v7
	v_mul_f64 v[23:24], v[14:15], s[12:13]
	v_and_or_b32 v7, 0x1ff, v24, v23
	v_lshrrev_b32_e32 v10, 8, v24
	v_bfe_u32 v23, v24, 20, 11
	v_cmp_ne_u32_e64 s1, 0, v7
	v_cndmask_b32_e64 v7, 0, 1, s1
	v_and_or_b32 v7, 0xffe, v10, v7
	v_sub_nc_u32_e32 v10, 0x3f1, v23
	v_add_nc_u32_e32 v23, 0xfffffc10, v23
	v_or_b32_e32 v14, 0x1000, v7
	v_med3_i32 v10, v10, 0, 13
	v_lshrrev_b32_e32 v27, v10, v14
	v_lshlrev_b32_e32 v10, v10, v27
	v_cmp_ne_u32_e64 s2, v10, v14
	v_cvt_f64_f32_e32 v[14:15], v5
	v_mul_f64 v[14:15], v[14:15], s[12:13]
	v_and_or_b32 v5, 0x1ff, v15, v14
	v_lshrrev_b32_e32 v10, 8, v15
	v_cmp_ne_u32_e64 s1, 0, v5
	v_cndmask_b32_e64 v5, 0, 1, s1
	v_and_or_b32 v5, 0xffe, v10, v5
	v_bfe_u32 v10, v15, 20, 11
	v_or_b32_e32 v26, 0x1000, v5
	v_sub_nc_u32_e32 v14, 0x3f1, v10
	v_add_nc_u32_e32 v10, 0xfffffc10, v10
	v_med3_i32 v25, v14, 0, 13
	v_lshrrev_b32_e32 v14, v25, v26
	v_lshlrev_b32_e32 v25, v25, v14
	v_cmp_ne_u32_e64 s1, v25, v26
	v_cvt_f64_f32_e32 v[25:26], v1
	v_mul_f64 v[25:26], v[25:26], s[12:13]
	v_and_or_b32 v1, 0x1ff, v26, v25
	v_lshrrev_b32_e32 v25, 8, v26
	v_cmp_ne_u32_e64 s3, 0, v1
	v_cndmask_b32_e64 v1, 0, 1, s3
	v_and_or_b32 v1, 0xffe, v25, v1
	v_bfe_u32 v25, v26, 20, 11
	v_or_b32_e32 v29, 0x1000, v1
	v_sub_nc_u32_e32 v28, 0x3f1, v25
	v_add_nc_u32_e32 v25, 0xfffffc10, v25
	v_cmp_ne_u32_e64 s4, 0, v1
	v_med3_i32 v28, v28, 0, 13
	v_lshrrev_b32_e32 v30, v28, v29
	v_lshlrev_b32_e32 v28, v28, v30
	v_cmp_ne_u32_e64 s3, v28, v29
	v_lshl_or_b32 v29, v25, 12, v1
	v_cndmask_b32_e64 v28, 0, 1, s3
	v_cmp_gt_i32_e64 s3, 1, v25
	v_or_b32_e32 v28, v30, v28
	v_cndmask_b32_e64 v28, v29, v28, s3
	v_cndmask_b32_e64 v29, 0, 1, vcc_lo
	v_cmp_gt_i32_e32 vcc_lo, 1, v17
	v_or_b32_e32 v19, v19, v29
	v_lshl_or_b32 v29, v17, 12, v8
	v_cndmask_b32_e32 v19, v29, v19, vcc_lo
	v_and_b32_e32 v29, 7, v28
	v_and_b32_e32 v1, 7, v19
	v_cmp_lt_i32_e32 vcc_lo, 5, v29
	v_cmp_eq_u32_e64 s3, 3, v29
	v_lshrrev_b32_e32 v19, 2, v19
	buffer_load_dword v29, off, s[20:23], 0 offset:144 ; 4-byte Folded Reload
	v_cmp_lt_i32_e64 s5, 5, v1
	v_cmp_eq_u32_e64 s6, 3, v1
	v_lshrrev_b32_e32 v1, 2, v28
	s_or_b32 vcc_lo, s3, vcc_lo
	v_cndmask_b32_e64 v28, 0, 1, s4
	s_or_b32 s3, s6, s5
	v_add_co_ci_u32_e32 v1, vcc_lo, 0, v1, vcc_lo
	v_cmp_gt_i32_e32 vcc_lo, 31, v25
	v_lshl_or_b32 v28, v28, 9, 0x7c00
	v_add_co_ci_u32_e64 v19, s3, 0, v19, s3
	v_cmp_gt_i32_e64 s3, 31, v17
	v_cndmask_b32_e32 v1, 0x7c00, v1, vcc_lo
	v_cmp_eq_u32_e32 vcc_lo, 0x40f, v25
	v_cndmask_b32_e64 v19, 0x7c00, v19, s3
	v_cndmask_b32_e32 v1, v1, v28, vcc_lo
	v_cmp_ne_u32_e32 vcc_lo, 0, v8
	v_lshrrev_b32_e32 v8, 16, v26
	v_cndmask_b32_e64 v25, 0, 1, vcc_lo
	v_cmp_eq_u32_e32 vcc_lo, 0x40f, v17
	v_and_or_b32 v1, 0x8000, v8, v1
	v_lshl_or_b32 v25, v25, 9, 0x7c00
	v_and_b32_e32 v1, 0xffff, v1
	v_cndmask_b32_e32 v17, v19, v25, vcc_lo
	v_cndmask_b32_e64 v19, 0, 1, s0
	v_cmp_gt_i32_e32 vcc_lo, 1, v18
	v_lshl_or_b32 v25, v23, 12, v7
	v_and_or_b32 v8, 0x8000, v13, v17
	v_or_b32_e32 v19, v20, v19
	v_lshl_or_b32 v20, v18, 12, v12
	v_lshl_or_b32 v1, v8, 16, v1
	v_cndmask_b32_e32 v19, v20, v19, vcc_lo
	v_cndmask_b32_e64 v20, 0, 1, s2
	v_cmp_gt_i32_e32 vcc_lo, 1, v23
	v_cmp_ne_u32_e64 s2, 0, v12
	global_store_dword v[21:22], v1, off
	v_or_b32_e32 v20, v27, v20
	v_cndmask_b32_e32 v20, v25, v20, vcc_lo
	v_and_b32_e32 v25, 7, v19
	v_and_b32_e32 v12, 7, v20
	v_cmp_lt_i32_e32 vcc_lo, 5, v25
	v_cmp_eq_u32_e64 s0, 3, v25
	v_cmp_lt_i32_e64 s3, 5, v12
	v_cmp_eq_u32_e64 s4, 3, v12
	v_lshrrev_b32_e32 v12, 2, v19
	s_or_b32 vcc_lo, s0, vcc_lo
	v_cndmask_b32_e64 v19, 0, 1, s2
	s_or_b32 s0, s4, s3
	v_add_co_ci_u32_e32 v12, vcc_lo, 0, v12, vcc_lo
	v_cmp_gt_i32_e32 vcc_lo, 31, v18
	v_lshl_or_b32 v19, v19, 9, 0x7c00
	v_cndmask_b32_e32 v12, 0x7c00, v12, vcc_lo
	v_cmp_eq_u32_e32 vcc_lo, 0x40f, v18
	v_cndmask_b32_e32 v12, v12, v19, vcc_lo
	v_cmp_ne_u32_e32 vcc_lo, 0, v7
	v_lshrrev_b32_e32 v7, 2, v20
	v_and_or_b32 v16, 0x8000, v16, v12
	v_cndmask_b32_e64 v18, 0, 1, vcc_lo
	v_add_co_ci_u32_e64 v7, s0, 0, v7, s0
	v_cmp_gt_i32_e64 s0, 31, v23
	v_cmp_eq_u32_e32 vcc_lo, 0x40f, v23
	v_lshl_or_b32 v18, v18, 9, 0x7c00
	v_and_b32_e32 v16, 0xffff, v16
	ds_read2_b32 v[12:13], v183 offset0:54 offset1:103
	v_cndmask_b32_e64 v7, 0x7c00, v7, s0
	v_cndmask_b32_e32 v7, v7, v18, vcc_lo
	v_lshrrev_b32_e32 v18, 16, v24
	v_and_or_b32 v7, 0x8000, v18, v7
	v_lshl_or_b32 v16, v7, 16, v16
	v_add_co_u32 v7, vcc_lo, v21, s10
	v_add_co_ci_u32_e32 v8, vcc_lo, s7, v22, vcc_lo
	s_waitcnt lgkmcnt(0)
	v_lshrrev_b32_e32 v23, 16, v12
	v_add_co_u32 v17, vcc_lo, v7, s10
	global_store_dword v[7:8], v16, off
	v_add_co_ci_u32_e32 v18, vcc_lo, s7, v8, vcc_lo
	buffer_load_dword v8, off, s[20:23], 0 offset:140 ; 4-byte Folded Reload
	v_lshrrev_b32_e32 v16, 16, v9
	s_waitcnt vmcnt(1)
	v_mul_f16_sdwa v1, v29, v12 dst_sel:DWORD dst_unused:UNUSED_PAD src0_sel:WORD_1 src1_sel:DWORD
	v_fma_f16 v7, v29, v23, -v1
	v_cvt_f32_f16_e32 v7, v7
	s_waitcnt vmcnt(0)
	v_mul_f16_sdwa v1, v8, v16 dst_sel:DWORD dst_unused:UNUSED_PAD src0_sel:WORD_1 src1_sel:DWORD
	v_mov_b32_e32 v21, v8
	v_fmac_f16_e32 v1, v8, v9
	v_mul_f16_sdwa v9, v8, v9 dst_sel:DWORD dst_unused:UNUSED_PAD src0_sel:WORD_1 src1_sel:DWORD
	v_cvt_f64_f32_e32 v[7:8], v7
	v_cvt_f32_f16_e32 v1, v1
	v_mul_f64 v[19:20], v[7:8], s[12:13]
	v_fma_f16 v7, v21, v16, -v9
	v_cvt_f32_f16_e32 v7, v7
	v_and_or_b32 v8, 0x1ff, v20, v19
	v_lshrrev_b32_e32 v9, 8, v20
	v_bfe_u32 v24, v20, 20, 11
	v_lshrrev_b32_e32 v20, 16, v20
	v_cmp_ne_u32_e32 vcc_lo, 0, v8
	v_cndmask_b32_e64 v8, 0, 1, vcc_lo
	v_and_or_b32 v19, 0xffe, v9, v8
	v_sub_nc_u32_e32 v8, 0x3f1, v24
	v_or_b32_e32 v9, 0x1000, v19
	v_med3_i32 v8, v8, 0, 13
	v_lshrrev_b32_e32 v25, v8, v9
	v_lshlrev_b32_e32 v8, v8, v25
	v_cmp_ne_u32_e32 vcc_lo, v8, v9
	v_cvt_f64_f32_e32 v[7:8], v7
	v_mul_f64 v[7:8], v[7:8], s[12:13]
	v_and_or_b32 v7, 0x1ff, v8, v7
	v_lshrrev_b32_e32 v9, 8, v8
	v_cmp_ne_u32_e64 s0, 0, v7
	v_cndmask_b32_e64 v7, 0, 1, s0
	v_and_or_b32 v7, 0xffe, v9, v7
	v_bfe_u32 v9, v8, 20, 11
	v_or_b32_e32 v22, 0x1000, v7
	v_sub_nc_u32_e32 v16, 0x3f1, v9
	v_add_nc_u32_e32 v9, 0xfffffc10, v9
	v_med3_i32 v21, v16, 0, 13
	v_lshrrev_b32_e32 v16, v21, v22
	v_lshlrev_b32_e32 v21, v21, v16
	v_cmp_ne_u32_e64 s0, v21, v22
	v_cvt_f64_f32_e32 v[21:22], v3
	v_mul_f64 v[21:22], v[21:22], s[12:13]
	v_and_or_b32 v3, 0x1ff, v22, v21
	v_lshrrev_b32_e32 v21, 8, v22
	v_cmp_ne_u32_e64 s2, 0, v3
	v_cndmask_b32_e64 v3, 0, 1, s2
	v_and_or_b32 v3, 0xffe, v21, v3
	v_bfe_u32 v21, v22, 20, 11
	v_or_b32_e32 v27, 0x1000, v3
	v_sub_nc_u32_e32 v26, 0x3f1, v21
	v_add_nc_u32_e32 v21, 0xfffffc10, v21
	v_cmp_ne_u32_e64 s3, 0, v3
	v_med3_i32 v26, v26, 0, 13
	v_lshrrev_b32_e32 v28, v26, v27
	v_lshlrev_b32_e32 v26, v26, v28
	v_cmp_ne_u32_e64 s2, v26, v27
	v_lshl_or_b32 v27, v21, 12, v3
	v_cndmask_b32_e64 v26, 0, 1, s2
	v_cmp_gt_i32_e64 s2, 1, v21
	v_or_b32_e32 v26, v28, v26
	v_cndmask_b32_e64 v26, v27, v26, s2
	v_cndmask_b32_e64 v27, 0, 1, s1
	v_cmp_gt_i32_e64 s1, 1, v10
	v_or_b32_e32 v14, v14, v27
	v_lshl_or_b32 v27, v10, 12, v5
	v_cndmask_b32_e64 v14, v27, v14, s1
	v_and_b32_e32 v27, 7, v26
	v_and_b32_e32 v3, 7, v14
	v_cmp_lt_i32_e64 s1, 5, v27
	v_cmp_eq_u32_e64 s2, 3, v27
	v_cvt_f64_f32_e32 v[27:28], v1
	v_cmp_lt_i32_e64 s4, 5, v3
	v_cmp_eq_u32_e64 s5, 3, v3
	v_lshrrev_b32_e32 v3, 2, v26
	s_or_b32 s1, s2, s1
	v_cndmask_b32_e64 v26, 0, 1, s3
	s_or_b32 s2, s5, s4
	v_add_co_ci_u32_e64 v3, s1, 0, v3, s1
	v_cmp_gt_i32_e64 s1, 31, v21
	v_lshl_or_b32 v26, v26, 9, 0x7c00
	v_cndmask_b32_e64 v3, 0x7c00, v3, s1
	v_cmp_eq_u32_e64 s1, 0x40f, v21
	v_lshrrev_b32_e32 v21, 16, v22
	v_cndmask_b32_e64 v3, v3, v26, s1
	v_cmp_ne_u32_e64 s1, 0, v5
	v_lshrrev_b32_e32 v5, 2, v14
	v_mul_f64 v[27:28], v[27:28], s[12:13]
	v_and_or_b32 v3, 0x8000, v21, v3
	v_cndmask_b32_e64 v14, 0, 1, s1
	v_add_co_ci_u32_e64 v5, s2, 0, v5, s2
	v_cmp_gt_i32_e64 s2, 31, v10
	v_cmp_eq_u32_e64 s1, 0x40f, v10
	v_lshl_or_b32 v14, v14, 9, 0x7c00
	v_lshrrev_b32_e32 v10, 16, v15
	v_mov_b32_e32 v15, v29
	v_cndmask_b32_e64 v5, 0x7c00, v5, s2
	v_and_b32_e32 v3, 0xffff, v3
	v_cndmask_b32_e64 v5, v5, v14, s1
	v_mul_f16_sdwa v14, v15, v23 dst_sel:DWORD dst_unused:UNUSED_PAD src0_sel:WORD_1 src1_sel:DWORD
	v_and_or_b32 v5, 0x8000, v10, v5
	v_fmac_f16_e32 v14, v15, v12
	v_and_or_b32 v1, 0x1ff, v28, v27
	v_lshl_or_b32 v3, v5, 16, v3
	v_cvt_f32_f16_e32 v5, v14
	v_add_co_u32 v14, s1, v17, s10
	v_add_co_ci_u32_e64 v15, s1, s7, v18, s1
	global_store_dword v[17:18], v3, off
	v_cvt_f64_f32_e32 v[17:18], v5
	v_mul_f64 v[17:18], v[17:18], s[12:13]
	v_and_or_b32 v3, 0x1ff, v18, v17
	v_lshrrev_b32_e32 v5, 8, v18
	v_cmp_ne_u32_e64 s1, 0, v3
	v_cndmask_b32_e64 v3, 0, 1, s1
	v_and_or_b32 v3, 0xffe, v5, v3
	v_bfe_u32 v5, v18, 20, 11
	v_or_b32_e32 v12, 0x1000, v3
	v_sub_nc_u32_e32 v10, 0x3f1, v5
	v_add_nc_u32_e32 v5, 0xfffffc10, v5
	v_cmp_ne_u32_e64 s2, 0, v3
	v_med3_i32 v10, v10, 0, 13
	v_lshrrev_b32_e32 v17, v10, v12
	v_lshlrev_b32_e32 v10, v10, v17
	v_cmp_ne_u32_e64 s1, v10, v12
	buffer_load_dword v10, off, s[20:23], 0 offset:136 ; 4-byte Folded Reload
	v_lshrrev_b32_e32 v12, 16, v11
	s_waitcnt vmcnt(0)
	v_mul_f16_sdwa v21, v10, v12 dst_sel:DWORD dst_unused:UNUSED_PAD src0_sel:WORD_1 src1_sel:DWORD
	v_mov_b32_e32 v26, v10
	v_fmac_f16_e32 v21, v10, v11
	v_cndmask_b32_e64 v10, 0, 1, s1
	v_mul_f16_sdwa v22, v26, v11 dst_sel:DWORD dst_unused:UNUSED_PAD src0_sel:WORD_1 src1_sel:DWORD
	v_lshl_or_b32 v11, v5, 12, v3
	v_cmp_gt_i32_e64 s1, 1, v5
	v_or_b32_e32 v10, v17, v10
	v_add_nc_u32_e32 v17, 0xfffffc10, v24
	v_cndmask_b32_e64 v10, v11, v10, s1
	v_cndmask_b32_e64 v11, 0, 1, vcc_lo
	v_lshl_or_b32 v23, v17, 12, v19
	v_cmp_gt_i32_e32 vcc_lo, 1, v17
	v_or_b32_e32 v11, v25, v11
	v_cndmask_b32_e32 v11, v23, v11, vcc_lo
	v_and_b32_e32 v23, 7, v10
	v_and_b32_e32 v3, 7, v11
	v_cmp_lt_i32_e32 vcc_lo, 5, v23
	v_cmp_eq_u32_e64 s1, 3, v23
	v_cmp_lt_i32_e64 s3, 5, v3
	v_cmp_eq_u32_e64 s4, 3, v3
	v_lshrrev_b32_e32 v3, 2, v10
	s_or_b32 vcc_lo, s1, vcc_lo
	v_cndmask_b32_e64 v10, 0, 1, s2
	v_add_co_ci_u32_e32 v3, vcc_lo, 0, v3, vcc_lo
	v_cmp_gt_i32_e32 vcc_lo, 31, v5
	v_lshl_or_b32 v10, v10, 9, 0x7c00
	v_cndmask_b32_e32 v3, 0x7c00, v3, vcc_lo
	v_cmp_eq_u32_e32 vcc_lo, 0x40f, v5
	v_lshrrev_b32_e32 v5, 16, v18
	v_cndmask_b32_e32 v3, v3, v10, vcc_lo
	v_lshrrev_b32_e32 v10, 2, v11
	s_or_b32 vcc_lo, s4, s3
	v_cmp_ne_u32_e64 s3, 0, v1
	v_and_or_b32 v3, 0x8000, v5, v3
	v_add_co_ci_u32_e32 v10, vcc_lo, 0, v10, vcc_lo
	v_cmp_ne_u32_e32 vcc_lo, 0, v19
	v_cndmask_b32_e64 v1, 0, 1, s3
	v_and_b32_e32 v3, 0xffff, v3
	v_cndmask_b32_e64 v11, 0, 1, vcc_lo
	v_cmp_gt_i32_e32 vcc_lo, 31, v17
	v_lshl_or_b32 v19, v11, 9, 0x7c00
	v_cndmask_b32_e32 v18, 0x7c00, v10, vcc_lo
	v_cmp_eq_u32_e32 vcc_lo, 0x40f, v17
	ds_read2_b32 v[10:11], v185 offset0:100 offset1:149
	v_cndmask_b32_e32 v23, v18, v19, vcc_lo
	buffer_load_dword v18, off, s[20:23], 0 offset:180 ; 4-byte Folded Reload
	v_and_or_b32 v5, 0x8000, v20, v23
	v_lshl_or_b32 v3, v5, 16, v3
	global_store_dword v[14:15], v3, off
	s_waitcnt lgkmcnt(0)
	v_lshrrev_b32_e32 v29, 16, v10
	s_waitcnt vmcnt(0)
	v_mul_f16_sdwa v17, v18, v10 dst_sel:DWORD dst_unused:UNUSED_PAD src0_sel:WORD_1 src1_sel:DWORD
	v_mov_b32_e32 v32, v18
	v_fma_f16 v17, v18, v29, -v17
	v_cvt_f32_f16_e32 v17, v17
	v_cvt_f64_f32_e32 v[17:18], v17
	v_mul_f64 v[18:19], v[17:18], s[12:13]
	v_and_or_b32 v17, 0x1ff, v19, v18
	v_fma_f16 v18, v26, v12, -v22
	v_lshrrev_b32_e32 v12, 8, v19
	v_bfe_u32 v20, v19, 20, 11
	v_cmp_ne_u32_e32 vcc_lo, 0, v17
	v_sub_nc_u32_e32 v3, 0x3f1, v20
	v_add_nc_u32_e32 v20, 0xfffffc10, v20
	v_cndmask_b32_e64 v5, 0, 1, vcc_lo
	v_add_co_u32 v25, vcc_lo, v14, s10
	v_cvt_f32_f16_e32 v14, v21
	v_add_co_ci_u32_e32 v26, vcc_lo, s7, v15, vcc_lo
	v_and_or_b32 v5, 0xffe, v12, v5
	v_med3_i32 v3, v3, 0, 13
	v_cvt_f64_f32_e32 v[14:15], v14
	v_or_b32_e32 v12, 0x1000, v5
	v_lshrrev_b32_e32 v30, v3, v12
	v_lshlrev_b32_e32 v3, v3, v30
	v_cmp_ne_u32_e64 s2, v3, v12
	v_mul_f64 v[14:15], v[14:15], s[12:13]
	v_and_or_b32 v3, 0x1ff, v15, v14
	v_lshrrev_b32_e32 v12, 8, v15
	v_cmp_ne_u32_e32 vcc_lo, 0, v3
	v_cndmask_b32_e64 v3, 0, 1, vcc_lo
	v_and_or_b32 v3, 0xffe, v12, v3
	v_bfe_u32 v12, v15, 20, 11
	v_or_b32_e32 v17, 0x1000, v3
	v_sub_nc_u32_e32 v14, 0x3f1, v12
	v_add_nc_u32_e32 v12, 0xfffffc10, v12
	v_med3_i32 v14, v14, 0, 13
	v_lshrrev_b32_e32 v22, v14, v17
	v_lshlrev_b32_e32 v14, v14, v22
	v_cmp_ne_u32_e32 vcc_lo, v14, v17
	v_cvt_f32_f16_e32 v14, v18
	v_cvt_f64_f32_e32 v[17:18], v14
	v_mul_f64 v[17:18], v[17:18], s[12:13]
	v_and_or_b32 v14, 0x1ff, v18, v17
	v_lshrrev_b32_e32 v17, 8, v18
	v_bfe_u32 v23, v18, 20, 11
	v_cmp_ne_u32_e64 s1, 0, v14
	v_cndmask_b32_e64 v14, 0, 1, s1
	v_and_or_b32 v21, 0xffe, v17, v14
	v_sub_nc_u32_e32 v14, 0x3f1, v23
	v_or_b32_e32 v17, 0x1000, v21
	v_med3_i32 v14, v14, 0, 13
	v_lshrrev_b32_e32 v24, v14, v17
	v_lshlrev_b32_e32 v14, v14, v24
	v_cmp_ne_u32_e64 s1, v14, v17
	v_lshrrev_b32_e32 v14, 8, v28
	v_and_or_b32 v1, 0xffe, v14, v1
	v_bfe_u32 v14, v28, 20, 11
	v_or_b32_e32 v27, 0x1000, v1
	v_sub_nc_u32_e32 v17, 0x3f1, v14
	v_add_nc_u32_e32 v14, 0xfffffc10, v14
	v_cmp_ne_u32_e64 s5, 0, v1
	v_med3_i32 v17, v17, 0, 13
	v_lshrrev_b32_e32 v31, v17, v27
	v_lshlrev_b32_e32 v17, v17, v31
	v_cmp_ne_u32_e64 s3, v17, v27
	v_lshl_or_b32 v27, v14, 12, v1
	v_cndmask_b32_e64 v1, 0, 1, s0
	v_cmp_gt_i32_e64 s0, 1, v9
	v_cndmask_b32_e64 v17, 0, 1, s3
	v_cmp_gt_i32_e64 s3, 1, v14
	v_or_b32_e32 v1, v16, v1
	v_lshl_or_b32 v16, v9, 12, v7
	v_or_b32_e32 v17, v31, v17
	v_cndmask_b32_e64 v1, v16, v1, s0
	v_cndmask_b32_e64 v17, v27, v17, s3
	v_and_b32_e32 v27, 7, v17
	v_lshrrev_b32_e32 v16, 2, v17
	v_cndmask_b32_e64 v17, 0, 1, s5
	v_cmp_lt_i32_e64 s3, 5, v27
	v_cmp_eq_u32_e64 s4, 3, v27
	v_lshl_or_b32 v17, v17, 9, 0x7c00
	s_or_b32 s0, s4, s3
	v_cmp_ne_u32_e64 s4, 0, v7
	v_add_co_ci_u32_e64 v16, s0, 0, v16, s0
	v_cmp_gt_i32_e64 s0, 31, v14
	v_cndmask_b32_e64 v7, 0, 1, s4
	v_cndmask_b32_e64 v16, 0x7c00, v16, s0
	v_cmp_eq_u32_e64 s0, 0x40f, v14
	v_lshl_or_b32 v7, v7, 9, 0x7c00
	v_cndmask_b32_e64 v14, v16, v17, s0
	v_and_b32_e32 v17, 7, v1
	v_lshrrev_b32_e32 v1, 2, v1
	v_lshrrev_b32_e32 v16, 16, v28
	v_cmp_lt_i32_e64 s0, 5, v17
	v_cmp_eq_u32_e64 s3, 3, v17
	s_or_b32 s0, s3, s0
	v_add_co_ci_u32_e64 v1, s0, 0, v1, s0
	v_cmp_gt_i32_e64 s0, 31, v9
	v_cndmask_b32_e64 v1, 0x7c00, v1, s0
	v_cmp_eq_u32_e64 s0, 0x40f, v9
	v_cndmask_b32_e64 v1, v1, v7, s0
	v_lshrrev_b32_e32 v7, 16, v8
	v_and_or_b32 v8, 0x8000, v16, v14
	buffer_load_dword v14, off, s[20:23], 0 offset:132 ; 4-byte Folded Reload
	v_add_co_u32 v27, s0, v25, s10
	v_and_or_b32 v1, 0x8000, v7, v1
	v_and_b32_e32 v7, 0xffff, v8
	ds_read2_b32 v[8:9], v132 offset0:98 offset1:147
	v_add_co_ci_u32_e64 v28, s0, s7, v26, s0
	v_lshl_or_b32 v1, v1, 16, v7
	global_store_dword v[25:26], v1, off
	s_waitcnt lgkmcnt(0)
	v_lshrrev_b32_e32 v1, 16, v8
	s_waitcnt vmcnt(0)
	v_mul_f16_sdwa v7, v14, v8 dst_sel:DWORD dst_unused:UNUSED_PAD src0_sel:WORD_1 src1_sel:DWORD
	v_fma_f16 v26, v14, v1, -v7
	v_mul_f16_sdwa v1, v14, v1 dst_sel:DWORD dst_unused:UNUSED_PAD src0_sel:WORD_1 src1_sel:DWORD
	v_fmac_f16_e32 v1, v14, v8
	v_cvt_f32_f16_e32 v1, v1
	v_cvt_f64_f32_e32 v[7:8], v1
	v_mul_f64 v[16:17], v[7:8], s[12:13]
	v_and_or_b32 v1, 0x1ff, v17, v16
	v_lshrrev_b32_e32 v7, 8, v17
	v_bfe_u32 v16, v17, 20, 11
	v_lshrrev_b32_e32 v17, 16, v17
	v_cmp_ne_u32_e64 s0, 0, v1
	v_cndmask_b32_e64 v1, 0, 1, s0
	v_and_or_b32 v1, 0xffe, v7, v1
	v_sub_nc_u32_e32 v7, 0x3f1, v16
	v_or_b32_e32 v8, 0x1000, v1
	v_med3_i32 v7, v7, 0, 13
	v_lshrrev_b32_e32 v25, v7, v8
	v_lshlrev_b32_e32 v7, v7, v25
	v_cmp_ne_u32_e64 s0, v7, v8
	v_mul_f16_sdwa v7, v32, v29 dst_sel:DWORD dst_unused:UNUSED_PAD src0_sel:WORD_1 src1_sel:DWORD
	v_fmac_f16_e32 v7, v32, v10
	v_cvt_f32_f16_e32 v7, v7
	v_cvt_f64_f32_e32 v[7:8], v7
	v_mul_f64 v[7:8], v[7:8], s[12:13]
	v_and_or_b32 v7, 0x1ff, v8, v7
	v_lshrrev_b32_e32 v10, 8, v8
	v_cmp_ne_u32_e64 s3, 0, v7
	v_cndmask_b32_e64 v7, 0, 1, s3
	v_and_or_b32 v7, 0xffe, v10, v7
	v_bfe_u32 v10, v8, 20, 11
	v_lshrrev_b32_e32 v8, 16, v8
	v_or_b32_e32 v29, 0x1000, v7
	v_sub_nc_u32_e32 v14, 0x3f1, v10
	v_add_nc_u32_e32 v10, 0xfffffc10, v10
	v_cmp_ne_u32_e64 s4, 0, v7
	v_med3_i32 v14, v14, 0, 13
	v_lshrrev_b32_e32 v31, v14, v29
	v_lshlrev_b32_e32 v14, v14, v31
	v_cmp_ne_u32_e64 s3, v14, v29
	v_lshl_or_b32 v29, v10, 12, v7
	v_cndmask_b32_e64 v14, 0, 1, s3
	v_cmp_gt_i32_e64 s3, 1, v10
	v_or_b32_e32 v14, v31, v14
	v_cndmask_b32_e64 v14, v29, v14, s3
	v_cndmask_b32_e64 v29, 0, 1, s2
	v_cmp_gt_i32_e64 s2, 1, v20
	v_or_b32_e32 v29, v30, v29
	v_lshl_or_b32 v30, v20, 12, v5
	v_cndmask_b32_e64 v29, v30, v29, s2
	v_and_b32_e32 v30, 7, v14
	v_and_b32_e32 v7, 7, v29
	v_cmp_lt_i32_e64 s2, 5, v30
	v_cmp_eq_u32_e64 s3, 3, v30
	v_cmp_lt_i32_e64 s5, 5, v7
	v_cmp_eq_u32_e64 s6, 3, v7
	v_lshrrev_b32_e32 v7, 2, v14
	s_or_b32 s2, s3, s2
	v_cndmask_b32_e64 v14, 0, 1, s4
	s_or_b32 s3, s6, s5
	v_add_co_ci_u32_e64 v7, s2, 0, v7, s2
	v_cmp_gt_i32_e64 s2, 31, v10
	v_lshl_or_b32 v14, v14, 9, 0x7c00
	v_cndmask_b32_e64 v7, 0x7c00, v7, s2
	v_cmp_eq_u32_e64 s2, 0x40f, v10
	v_cndmask_b32_e64 v7, v7, v14, s2
	v_cmp_ne_u32_e64 s2, 0, v5
	v_lshrrev_b32_e32 v5, 2, v29
	v_and_or_b32 v7, 0x8000, v8, v7
	v_cndmask_b32_e64 v10, 0, 1, s2
	v_add_co_ci_u32_e64 v5, s3, 0, v5, s3
	v_cmp_gt_i32_e64 s3, 31, v20
	v_cmp_eq_u32_e64 s2, 0x40f, v20
	v_lshl_or_b32 v10, v10, 9, 0x7c00
	v_and_b32_e32 v7, 0xffff, v7
	v_cndmask_b32_e64 v5, 0x7c00, v5, s3
	v_cndmask_b32_e64 v5, v5, v10, s2
	v_lshrrev_b32_e32 v10, 16, v19
	v_and_or_b32 v5, 0x8000, v10, v5
	buffer_load_dword v10, off, s[20:23], 0 offset:176 ; 4-byte Folded Reload
	v_lshl_or_b32 v5, v5, 16, v7
	v_add_co_u32 v7, s2, v27, s10
	v_add_co_ci_u32_e64 v8, s2, s7, v28, s2
	global_store_dword v[27:28], v5, off
	v_lshrrev_b32_e32 v5, 16, v6
	s_waitcnt vmcnt(0)
	v_mul_f16_sdwa v14, v10, v5 dst_sel:DWORD dst_unused:UNUSED_PAD src0_sel:WORD_1 src1_sel:DWORD
	v_fmac_f16_e32 v14, v10, v6
	v_mul_f16_sdwa v6, v10, v6 dst_sel:DWORD dst_unused:UNUSED_PAD src0_sel:WORD_1 src1_sel:DWORD
	v_fma_f16 v10, v10, v5, -v6
	v_cvt_f32_f16_e32 v5, v26
	v_cvt_f64_f32_e32 v[5:6], v5
	v_mul_f64 v[19:20], v[5:6], s[12:13]
	v_and_or_b32 v5, 0x1ff, v20, v19
	v_lshrrev_b32_e32 v6, 8, v20
	v_bfe_u32 v27, v20, 20, 11
	v_lshl_or_b32 v19, v12, 12, v3
	v_lshrrev_b32_e32 v20, 16, v20
	v_cmp_ne_u32_e64 s2, 0, v5
	v_cndmask_b32_e64 v5, 0, 1, s2
	v_and_or_b32 v26, 0xffe, v6, v5
	v_sub_nc_u32_e32 v5, 0x3f1, v27
	v_or_b32_e32 v6, 0x1000, v26
	v_med3_i32 v5, v5, 0, 13
	v_lshrrev_b32_e32 v28, v5, v6
	v_lshlrev_b32_e32 v5, v5, v28
	v_cmp_ne_u32_e64 s2, v5, v6
	v_cvt_f32_f16_e32 v5, v10
	v_cvt_f64_f32_e32 v[5:6], v5
	v_mul_f64 v[5:6], v[5:6], s[12:13]
	v_and_or_b32 v5, 0x1ff, v6, v5
	v_lshrrev_b32_e32 v10, 8, v6
	v_bfe_u32 v29, v6, 20, 11
	v_cmp_ne_u32_e64 s3, 0, v5
	v_cndmask_b32_e64 v5, 0, 1, s3
	v_cmp_ne_u32_e64 s3, 0, v3
	v_and_or_b32 v5, 0xffe, v10, v5
	v_cndmask_b32_e64 v10, 0, 1, vcc_lo
	v_cmp_gt_i32_e32 vcc_lo, 1, v12
	v_or_b32_e32 v10, v22, v10
	v_add_nc_u32_e32 v22, 0xfffffc10, v23
	v_cndmask_b32_e32 v10, v19, v10, vcc_lo
	v_cndmask_b32_e64 v19, 0, 1, s1
	v_lshl_or_b32 v23, v22, 12, v21
	v_cmp_gt_i32_e32 vcc_lo, 1, v22
	v_or_b32_e32 v19, v24, v19
	v_cndmask_b32_e32 v19, v23, v19, vcc_lo
	v_and_b32_e32 v23, 7, v10
	v_and_b32_e32 v3, 7, v19
	v_cmp_lt_i32_e32 vcc_lo, 5, v23
	v_cmp_eq_u32_e64 s1, 3, v23
	v_cmp_lt_i32_e64 s4, 5, v3
	v_cmp_eq_u32_e64 s5, 3, v3
	v_lshrrev_b32_e32 v3, 2, v10
	s_or_b32 vcc_lo, s1, vcc_lo
	v_cndmask_b32_e64 v10, 0, 1, s3
	s_or_b32 s1, s5, s4
	v_add_co_ci_u32_e32 v3, vcc_lo, 0, v3, vcc_lo
	v_cmp_gt_i32_e32 vcc_lo, 31, v12
	v_lshl_or_b32 v10, v10, 9, 0x7c00
	v_cndmask_b32_e32 v3, 0x7c00, v3, vcc_lo
	v_cmp_eq_u32_e32 vcc_lo, 0x40f, v12
	v_lshrrev_b32_e32 v12, 2, v19
	v_cndmask_b32_e32 v3, v3, v10, vcc_lo
	v_cmp_ne_u32_e32 vcc_lo, 0, v21
	v_add_co_ci_u32_e64 v12, s1, 0, v12, s1
	v_lshrrev_b32_e32 v10, 16, v15
	v_cmp_gt_i32_e64 s1, 31, v22
	v_cndmask_b32_e64 v15, 0, 1, vcc_lo
	v_cmp_eq_u32_e32 vcc_lo, 0x40f, v22
	v_and_or_b32 v3, 0x8000, v10, v3
	v_cndmask_b32_e64 v12, 0x7c00, v12, s1
	v_lshl_or_b32 v15, v15, 9, 0x7c00
	v_sub_nc_u32_e32 v10, 0x3f1, v29
	v_and_b32_e32 v3, 0xffff, v3
	v_cndmask_b32_e32 v12, v12, v15, vcc_lo
	v_lshrrev_b32_e32 v15, 16, v18
	v_add_co_u32 v23, vcc_lo, v7, s8
	v_med3_i32 v10, v10, 0, 13
	v_add_co_ci_u32_e32 v24, vcc_lo, s9, v8, vcc_lo
	v_and_or_b32 v12, 0x8000, v15, v12
	v_or_b32_e32 v15, 0x1000, v5
	v_lshl_or_b32 v3, v12, 16, v3
	v_lshrrev_b32_e32 v30, v10, v15
	global_store_dword v[7:8], v3, off
	buffer_load_dword v7, off, s[20:23], 0 offset:128 ; 4-byte Folded Reload
	v_lshrrev_b32_e32 v3, 16, v13
	v_lshlrev_b32_e32 v10, v10, v30
	v_cmp_ne_u32_e64 s1, v10, v15
	s_waitcnt vmcnt(0)
	v_mul_f16_sdwa v18, v7, v3 dst_sel:DWORD dst_unused:UNUSED_PAD src0_sel:WORD_1 src1_sel:DWORD
	v_mov_b32_e32 v12, v7
	v_fmac_f16_e32 v18, v7, v13
	v_mul_f16_sdwa v10, v12, v13 dst_sel:DWORD dst_unused:UNUSED_PAD src0_sel:WORD_1 src1_sel:DWORD
	buffer_load_dword v13, off, s[20:23], 0 offset:124 ; 4-byte Folded Reload
	ds_read2_b32 v[7:8], v186 offset0:16 offset1:65
	v_fma_f16 v3, v12, v3, -v10
	v_cvt_f32_f16_e32 v3, v3
	s_waitcnt lgkmcnt(0)
	v_lshrrev_b32_e32 v10, 16, v7
	s_waitcnt vmcnt(0)
	v_mul_f16_sdwa v12, v13, v7 dst_sel:DWORD dst_unused:UNUSED_PAD src0_sel:WORD_1 src1_sel:DWORD
	v_fma_f16 v15, v13, v10, -v12
	v_mul_f16_sdwa v10, v13, v10 dst_sel:DWORD dst_unused:UNUSED_PAD src0_sel:WORD_1 src1_sel:DWORD
	v_fmac_f16_e32 v10, v13, v7
	v_cvt_f32_f16_e32 v7, v10
	v_cvt_f64_f32_e32 v[12:13], v7
	v_mul_f64 v[21:22], v[12:13], s[12:13]
	v_and_or_b32 v7, 0x1ff, v22, v21
	v_lshrrev_b32_e32 v10, 8, v22
	v_cmp_ne_u32_e32 vcc_lo, 0, v7
	v_cndmask_b32_e64 v7, 0, 1, vcc_lo
	v_and_or_b32 v19, 0xffe, v10, v7
	v_cndmask_b32_e64 v7, 0, 1, s0
	v_add_nc_u32_e32 v10, 0xfffffc10, v16
	v_add_nc_u32_e32 v16, 0xfffffc10, v27
	v_or_b32_e32 v7, v25, v7
	v_lshl_or_b32 v12, v10, 12, v1
	v_cmp_gt_i32_e32 vcc_lo, 1, v10
	v_lshl_or_b32 v13, v16, 12, v26
	v_bfe_u32 v25, v22, 20, 11
	v_lshrrev_b32_e32 v22, 16, v22
	v_cndmask_b32_e32 v7, v12, v7, vcc_lo
	v_cndmask_b32_e64 v12, 0, 1, s2
	v_cmp_gt_i32_e32 vcc_lo, 1, v16
	v_cmp_ne_u32_e64 s2, 0, v1
	v_or_b32_e32 v12, v28, v12
	v_cndmask_b32_e32 v21, v13, v12, vcc_lo
	v_and_b32_e32 v12, 7, v7
	v_and_b32_e32 v1, 7, v21
	v_cmp_lt_i32_e32 vcc_lo, 5, v12
	v_cmp_eq_u32_e64 s0, 3, v12
	v_cmp_lt_i32_e64 s3, 5, v1
	v_cmp_eq_u32_e64 s4, 3, v1
	v_lshrrev_b32_e32 v1, 2, v7
	s_or_b32 vcc_lo, s0, vcc_lo
	v_cndmask_b32_e64 v7, 0, 1, s2
	v_add_co_ci_u32_e32 v1, vcc_lo, 0, v1, vcc_lo
	v_cmp_gt_i32_e32 vcc_lo, 31, v10
	v_lshl_or_b32 v7, v7, 9, 0x7c00
	v_cndmask_b32_e32 v1, 0x7c00, v1, vcc_lo
	v_cmp_eq_u32_e32 vcc_lo, 0x40f, v10
	v_cvt_f32_f16_e32 v10, v15
	v_cndmask_b32_e32 v1, v1, v7, vcc_lo
	v_cvt_f64_f32_e32 v[12:13], v10
	v_lshrrev_b32_e32 v7, 2, v21
	s_or_b32 vcc_lo, s4, s3
	v_sub_nc_u32_e32 v21, 0x3f1, v25
	v_and_or_b32 v1, 0x8000, v17, v1
	v_add_co_ci_u32_e32 v7, vcc_lo, 0, v7, vcc_lo
	v_cmp_ne_u32_e32 vcc_lo, 0, v26
	v_med3_i32 v21, v21, 0, 13
	v_and_b32_e32 v1, 0xffff, v1
	v_cndmask_b32_e64 v10, 0, 1, vcc_lo
	v_cmp_gt_i32_e32 vcc_lo, 31, v16
	v_lshl_or_b32 v10, v10, 9, 0x7c00
	v_cndmask_b32_e32 v7, 0x7c00, v7, vcc_lo
	v_cmp_eq_u32_e32 vcc_lo, 0x40f, v16
	v_mul_f64 v[15:16], v[12:13], s[12:13]
	v_cvt_f64_f32_e32 v[12:13], v3
	v_cndmask_b32_e32 v7, v7, v10, vcc_lo
	v_or_b32_e32 v10, 0x1000, v19
	v_and_or_b32 v7, 0x8000, v20, v7
	v_lshrrev_b32_e32 v26, v21, v10
	v_lshl_or_b32 v1, v7, 16, v1
	v_lshlrev_b32_e32 v3, v21, v26
	global_store_dword v[23:24], v1, off
	v_cmp_ne_u32_e64 s0, v3, v10
	v_and_or_b32 v15, 0x1ff, v16, v15
	v_lshrrev_b32_e32 v7, 8, v16
	v_bfe_u32 v17, v16, 20, 11
	v_mul_f64 v[12:13], v[12:13], s[12:13]
	v_lshrrev_b32_e32 v16, 16, v16
	v_cmp_ne_u32_e32 vcc_lo, 0, v15
	v_sub_nc_u32_e32 v1, 0x3f1, v17
	v_add_nc_u32_e32 v17, 0xfffffc10, v17
	v_cndmask_b32_e64 v3, 0, 1, vcc_lo
	v_add_co_u32 v20, vcc_lo, v23, s10
	v_med3_i32 v1, v1, 0, 13
	v_add_co_ci_u32_e32 v21, vcc_lo, s7, v24, vcc_lo
	v_and_or_b32 v27, 0xffe, v7, v3
	v_or_b32_e32 v3, 0x1000, v27
	v_lshrrev_b32_e32 v23, v1, v3
	v_lshlrev_b32_e32 v1, v1, v23
	v_cmp_ne_u32_e64 s2, v1, v3
	v_and_or_b32 v1, 0x1ff, v13, v12
	v_lshrrev_b32_e32 v3, 8, v13
	v_cmp_ne_u32_e32 vcc_lo, 0, v1
	v_cndmask_b32_e64 v1, 0, 1, vcc_lo
	v_and_or_b32 v1, 0xffe, v3, v1
	v_bfe_u32 v3, v13, 20, 11
	v_or_b32_e32 v12, 0x1000, v1
	v_sub_nc_u32_e32 v7, 0x3f1, v3
	v_add_nc_u32_e32 v3, 0xfffffc10, v3
	v_med3_i32 v7, v7, 0, 13
	v_lshrrev_b32_e32 v10, v7, v12
	v_lshlrev_b32_e32 v7, v7, v10
	v_cmp_ne_u32_e32 vcc_lo, v7, v12
	v_cvt_f32_f16_e32 v7, v14
	v_cvt_f64_f32_e32 v[14:15], v7
	v_mul_f64 v[14:15], v[14:15], s[12:13]
	v_and_or_b32 v7, 0x1ff, v15, v14
	v_lshrrev_b32_e32 v12, 8, v15
	v_cmp_ne_u32_e64 s3, 0, v7
	v_cndmask_b32_e64 v7, 0, 1, s3
	v_and_or_b32 v7, 0xffe, v12, v7
	v_bfe_u32 v12, v15, 20, 11
	v_or_b32_e32 v24, 0x1000, v7
	v_sub_nc_u32_e32 v14, 0x3f1, v12
	v_add_nc_u32_e32 v12, 0xfffffc10, v12
	v_cmp_ne_u32_e64 s5, 0, v7
	v_med3_i32 v14, v14, 0, 13
	v_lshrrev_b32_e32 v28, v14, v24
	v_lshlrev_b32_e32 v14, v14, v28
	v_cmp_ne_u32_e64 s3, v14, v24
	v_lshl_or_b32 v24, v12, 12, v7
	v_cndmask_b32_e64 v7, 0, 1, s1
	v_cndmask_b32_e64 v14, 0, 1, s3
	v_cmp_gt_i32_e64 s3, 1, v12
	v_or_b32_e32 v7, v30, v7
	v_or_b32_e32 v14, v28, v14
	v_cndmask_b32_e64 v14, v24, v14, s3
	v_and_b32_e32 v24, 7, v14
	v_lshrrev_b32_e32 v14, 2, v14
	v_cmp_lt_i32_e64 s3, 5, v24
	v_cmp_eq_u32_e64 s4, 3, v24
	v_add_nc_u32_e32 v24, 0xfffffc10, v29
	v_lshl_or_b32 v28, v24, 12, v5
	v_cmp_gt_i32_e64 s1, 1, v24
	v_cndmask_b32_e64 v7, v28, v7, s1
	s_or_b32 s1, s4, s3
	v_cndmask_b32_e64 v28, 0, 1, s5
	v_add_co_ci_u32_e64 v14, s1, 0, v14, s1
	v_cmp_gt_i32_e64 s1, 31, v12
	v_cmp_ne_u32_e64 s4, 0, v5
	v_lshl_or_b32 v28, v28, 9, 0x7c00
	v_lshrrev_b32_e32 v5, 2, v7
	v_cndmask_b32_e64 v14, 0x7c00, v14, s1
	v_cmp_eq_u32_e64 s1, 0x40f, v12
	v_cndmask_b32_e64 v12, v14, v28, s1
	buffer_load_dword v28, off, s[20:23], 0 offset:120 ; 4-byte Folded Reload
	v_lshrrev_b32_e32 v14, 16, v15
	v_and_b32_e32 v15, 7, v7
	v_cndmask_b32_e64 v7, 0, 1, s4
	v_and_or_b32 v12, 0x8000, v14, v12
	v_cmp_lt_i32_e64 s1, 5, v15
	v_cmp_eq_u32_e64 s3, 3, v15
	v_lshl_or_b32 v7, v7, 9, 0x7c00
	v_lshrrev_b32_e32 v15, 16, v6
	v_and_b32_e32 v12, 0xffff, v12
	s_or_b32 s1, s3, s1
	v_add_co_ci_u32_e64 v5, s1, 0, v5, s1
	v_cmp_gt_i32_e64 s1, 31, v24
	v_cndmask_b32_e64 v5, 0x7c00, v5, s1
	v_cmp_eq_u32_e64 s1, 0x40f, v24
	v_cndmask_b32_e64 v5, v5, v7, s1
	ds_read2_b32 v[6:7], v184 offset0:190 offset1:239
	v_and_or_b32 v5, 0x8000, v15, v5
	v_lshl_or_b32 v5, v5, 16, v12
	global_store_dword v[20:21], v5, off
	v_add_co_u32 v20, s1, v20, s10
	v_add_co_ci_u32_e64 v21, s1, s7, v21, s1
	s_waitcnt lgkmcnt(0)
	v_lshrrev_b32_e32 v24, 16, v6
	s_waitcnt vmcnt(0)
	v_mul_f16_sdwa v14, v28, v24 dst_sel:DWORD dst_unused:UNUSED_PAD src0_sel:WORD_1 src1_sel:DWORD
	v_fmac_f16_e32 v14, v28, v6
	v_cvt_f32_f16_e32 v5, v14
	v_cvt_f64_f32_e32 v[14:15], v5
	v_mul_f16_sdwa v5, v28, v6 dst_sel:DWORD dst_unused:UNUSED_PAD src0_sel:WORD_1 src1_sel:DWORD
	v_fma_f16 v24, v28, v24, -v5
	buffer_load_dword v28, off, s[20:23], 0 offset:116 ; 4-byte Folded Reload
	v_cvt_f32_f16_e32 v24, v24
	v_mul_f64 v[14:15], v[14:15], s[12:13]
	v_and_or_b32 v5, 0x1ff, v15, v14
	v_lshrrev_b32_e32 v6, 8, v15
	v_add_nc_u32_e32 v14, 0xfffffc10, v25
	v_cmp_ne_u32_e64 s1, 0, v5
	v_cndmask_b32_e64 v5, 0, 1, s1
	v_and_or_b32 v12, 0xffe, v6, v5
	v_cndmask_b32_e64 v5, 0, 1, s0
	v_lshl_or_b32 v6, v14, 12, v19
	v_cmp_gt_i32_e64 s0, 1, v14
	v_or_b32_e32 v5, v26, v5
	v_cndmask_b32_e64 v25, v6, v5, s0
	v_cndmask_b32_e64 v5, 0, 1, s2
	v_lshl_or_b32 v6, v17, 12, v27
	v_cmp_gt_i32_e64 s0, 1, v17
	v_or_b32_e32 v5, v23, v5
	v_cndmask_b32_e64 v23, v6, v5, s0
	v_and_b32_e32 v5, 7, v25
	v_cvt_f32_f16_e32 v6, v18
	v_lshrrev_b32_e32 v18, 2, v25
	v_cmp_lt_i32_e64 s0, 5, v5
	v_cmp_eq_u32_e64 s1, 3, v5
	v_and_b32_e32 v5, 7, v23
	s_or_b32 s0, s1, s0
	v_cmp_lt_i32_e64 s2, 5, v5
	v_cmp_eq_u32_e64 s3, 3, v5
	v_cvt_f64_f32_e32 v[5:6], v6
	v_add_co_ci_u32_e64 v18, s0, 0, v18, s0
	v_cmp_ne_u32_e64 s0, 0, v19
	v_cndmask_b32_e64 v19, 0, 1, s0
	v_cmp_gt_i32_e64 s0, 31, v14
	v_lshl_or_b32 v26, v19, 9, 0x7c00
	v_cndmask_b32_e64 v25, 0x7c00, v18, s0
	v_cmp_eq_u32_e64 s0, 0x40f, v14
	v_cndmask_b32_e64 v14, v25, v26, s0
	s_or_b32 s0, s3, s2
	v_mul_f64 v[18:19], v[5:6], s[12:13]
	v_lshrrev_b32_e32 v5, 2, v23
	v_lshrrev_b32_e32 v25, 16, v11
	v_and_or_b32 v14, 0x8000, v22, v14
	v_add_co_ci_u32_e64 v5, s0, 0, v5, s0
	v_cmp_ne_u32_e64 s0, 0, v27
	v_and_b32_e32 v14, 0xffff, v14
	v_cndmask_b32_e64 v6, 0, 1, s0
	v_cmp_gt_i32_e64 s0, 31, v17
	v_lshl_or_b32 v27, v6, 9, 0x7c00
	v_cndmask_b32_e64 v26, 0x7c00, v5, s0
	v_cvt_f64_f32_e32 v[5:6], v24
	v_cmp_eq_u32_e64 s0, 0x40f, v17
	v_bfe_u32 v24, v15, 20, 11
	v_cndmask_b32_e64 v26, v26, v27, s0
	v_sub_nc_u32_e32 v27, 0x3f1, v24
	v_and_or_b32 v16, 0x8000, v16, v26
	v_med3_i32 v27, v27, 0, 13
	v_lshl_or_b32 v14, v16, 16, v14
	v_and_or_b32 v16, 0x1ff, v19, v18
	global_store_dword v[20:21], v14, off
	v_cmp_ne_u32_e64 s0, 0, v16
	v_lshrrev_b32_e32 v14, 8, v19
	v_add_co_u32 v20, s1, v20, s10
	v_add_co_ci_u32_e64 v21, s1, s7, v21, s1
	v_cndmask_b32_e64 v16, 0, 1, s0
	v_and_or_b32 v16, 0xffe, v14, v16
	s_waitcnt vmcnt(0)
	v_mul_f16_sdwa v23, v28, v25 dst_sel:DWORD dst_unused:UNUSED_PAD src0_sel:WORD_1 src1_sel:DWORD
	v_mov_b32_e32 v29, v28
	v_fmac_f16_e32 v23, v28, v11
	v_or_b32_e32 v28, 0x1000, v12
	v_mul_f16_sdwa v11, v29, v11 dst_sel:DWORD dst_unused:UNUSED_PAD src0_sel:WORD_1 src1_sel:DWORD
	v_cvt_f32_f16_e32 v17, v23
	v_lshrrev_b32_e32 v26, v27, v28
	v_cvt_f64_f32_e32 v[22:23], v17
	v_mul_f64 v[17:18], v[5:6], s[12:13]
	v_lshlrev_b32_e32 v5, v27, v26
	v_bfe_u32 v27, v19, 20, 11
	v_lshrrev_b32_e32 v19, 16, v19
	v_cmp_ne_u32_e64 s0, v5, v28
	v_mul_f64 v[5:6], v[22:23], s[12:13]
	v_sub_nc_u32_e32 v22, 0x3f1, v27
	v_and_or_b32 v14, 0x1ff, v18, v17
	v_fma_f16 v23, v29, v25, -v11
	v_lshl_or_b32 v29, v3, 12, v1
	v_med3_i32 v17, v22, 0, 13
	v_or_b32_e32 v22, 0x1000, v16
	v_cmp_ne_u32_e64 s1, 0, v14
	v_lshrrev_b32_e32 v14, 8, v18
	v_lshrrev_b32_e32 v25, v17, v22
	v_cndmask_b32_e64 v11, 0, 1, s1
	v_and_or_b32 v14, 0xffe, v14, v11
	v_lshlrev_b32_e32 v11, v17, v25
	v_and_or_b32 v5, 0x1ff, v6, v5
	v_bfe_u32 v32, v6, 20, 11
	v_cmp_ne_u32_e64 s1, 0, v5
	v_cndmask_b32_e64 v5, 0, 1, s1
	v_cmp_ne_u32_e64 s1, v11, v22
	v_lshrrev_b32_e32 v11, 8, v6
	v_add_nc_u32_e32 v22, 0xfffffc10, v27
	v_lshrrev_b32_e32 v6, 16, v6
	v_cndmask_b32_e64 v17, 0, 1, s1
	v_and_or_b32 v5, 0xffe, v11, v5
	v_cmp_gt_i32_e64 s1, 1, v22
	v_or_b32_e32 v11, v25, v17
	v_lshl_or_b32 v17, v22, 12, v16
	v_lshrrev_b32_e32 v25, 16, v9
	v_cndmask_b32_e64 v17, v17, v11, s1
	buffer_load_dword v11, off, s[20:23], 0 offset:112 ; 4-byte Folded Reload
	s_waitcnt vmcnt(0)
	v_mul_f16_sdwa v27, v11, v25 dst_sel:DWORD dst_unused:UNUSED_PAD src0_sel:WORD_1 src1_sel:DWORD
	v_mov_b32_e32 v30, v11
	v_fmac_f16_e32 v27, v11, v9
	v_cndmask_b32_e64 v11, 0, 1, vcc_lo
	v_mul_f16_sdwa v9, v30, v9 dst_sel:DWORD dst_unused:UNUSED_PAD src0_sel:WORD_1 src1_sel:DWORD
	v_cmp_gt_i32_e32 vcc_lo, 1, v3
	v_or_b32_e32 v28, v10, v11
	v_fma_f16 v30, v30, v25, -v9
	ds_read2_b32 v[10:11], v182 offset0:108 offset1:157
	v_and_b32_e32 v9, 7, v17
	v_cndmask_b32_e32 v25, v29, v28, vcc_lo
	buffer_load_dword v29, off, s[20:23], 0 offset:108 ; 4-byte Folded Reload
	v_cmp_lt_i32_e32 vcc_lo, 5, v9
	v_cmp_eq_u32_e64 s1, 3, v9
	v_and_b32_e32 v9, 7, v25
	s_or_b32 vcc_lo, s1, vcc_lo
	v_cmp_lt_i32_e64 s2, 5, v9
	v_cmp_eq_u32_e64 s3, 3, v9
	s_waitcnt lgkmcnt(0)
	v_lshrrev_b32_e32 v9, 16, v10
	s_waitcnt vmcnt(0)
	v_mul_f16_sdwa v28, v29, v10 dst_sel:DWORD dst_unused:UNUSED_PAD src0_sel:WORD_1 src1_sel:DWORD
	v_fma_f16 v28, v29, v9, -v28
	v_mul_f16_sdwa v9, v29, v9 dst_sel:DWORD dst_unused:UNUSED_PAD src0_sel:WORD_1 src1_sel:DWORD
	v_fmac_f16_e32 v9, v29, v10
	v_lshrrev_b32_e32 v10, 2, v17
	v_cvt_f32_f16_e32 v9, v9
	v_add_co_ci_u32_e32 v10, vcc_lo, 0, v10, vcc_lo
	v_cmp_ne_u32_e32 vcc_lo, 0, v16
	v_cndmask_b32_e64 v16, 0, 1, vcc_lo
	v_cmp_gt_i32_e32 vcc_lo, 31, v22
	v_lshl_or_b32 v16, v16, 9, 0x7c00
	v_cndmask_b32_e32 v10, 0x7c00, v10, vcc_lo
	v_cmp_eq_u32_e32 vcc_lo, 0x40f, v22
	v_bfe_u32 v22, v18, 20, 11
	v_cndmask_b32_e32 v29, v10, v16, vcc_lo
	v_cvt_f64_f32_e32 v[9:10], v9
	v_lshrrev_b32_e32 v16, 2, v25
	s_or_b32 vcc_lo, s3, s2
	v_sub_nc_u32_e32 v17, 0x3f1, v22
	v_add_nc_u32_e32 v34, 0xfffffc10, v22
	v_add_co_ci_u32_e32 v16, vcc_lo, 0, v16, vcc_lo
	v_cmp_ne_u32_e32 vcc_lo, 0, v1
	v_med3_i32 v25, v17, 0, 13
	v_lshl_or_b32 v22, v34, 12, v14
	v_cndmask_b32_e64 v1, 0, 1, vcc_lo
	v_cmp_gt_i32_e32 vcc_lo, 31, v3
	v_lshl_or_b32 v1, v1, 9, 0x7c00
	v_cndmask_b32_e32 v16, 0x7c00, v16, vcc_lo
	v_cmp_eq_u32_e32 vcc_lo, 0x40f, v3
	v_or_b32_e32 v3, 0x1000, v14
	v_cndmask_b32_e32 v1, v16, v1, vcc_lo
	v_mul_f64 v[16:17], v[9:10], s[12:13]
	v_lshrrev_b32_e32 v31, v25, v3
	v_lshrrev_b32_e32 v9, 16, v13
	v_cvt_f32_f16_e32 v10, v23
	v_and_or_b32 v13, 0x8000, v19, v29
	v_cndmask_b32_e64 v19, 0, 1, s0
	v_lshlrev_b32_e32 v25, v25, v31
	v_sub_nc_u32_e32 v23, 0x3f1, v32
	v_add_nc_u32_e32 v29, 0xfffffc10, v24
	v_and_or_b32 v1, 0x8000, v9, v1
	v_or_b32_e32 v19, v26, v19
	v_cmp_ne_u32_e32 vcc_lo, v25, v3
	v_med3_i32 v33, v23, 0, 13
	v_lshl_or_b32 v3, v29, 12, v12
	v_and_b32_e32 v13, 0xffff, v13
	v_cvt_f64_f32_e32 v[9:10], v10
	v_cndmask_b32_e64 v23, 0, 1, vcc_lo
	v_cmp_gt_i32_e32 vcc_lo, 1, v29
	v_lshl_or_b32 v1, v1, 16, v13
	v_cndmask_b32_e32 v3, v3, v19, vcc_lo
	v_or_b32_e32 v19, v31, v23
	v_and_or_b32 v16, 0x1ff, v17, v16
	v_cmp_gt_i32_e32 vcc_lo, 1, v34
	v_bfe_u32 v31, v17, 20, 11
	v_and_b32_e32 v13, 7, v3
	v_lshrrev_b32_e32 v3, 2, v3
	global_store_dword v[20:21], v1, off
	v_cndmask_b32_e32 v19, v22, v19, vcc_lo
	v_cmp_ne_u32_e32 vcc_lo, 0, v16
	v_cmp_eq_u32_e64 s0, 3, v13
	v_lshrrev_b32_e32 v22, 8, v17
	v_lshrrev_b32_e32 v17, 16, v17
	v_cndmask_b32_e64 v16, 0, 1, vcc_lo
	v_cmp_lt_i32_e32 vcc_lo, 5, v13
	v_and_b32_e32 v13, 7, v19
	v_mul_f64 v[25:26], v[9:10], s[12:13]
	v_cvt_f32_f16_e32 v10, v28
	v_and_or_b32 v24, 0xffe, v22, v16
	s_or_b32 vcc_lo, s0, vcc_lo
	v_cmp_lt_i32_e64 s1, 5, v13
	v_add_co_ci_u32_e32 v3, vcc_lo, 0, v3, vcc_lo
	v_cmp_ne_u32_e32 vcc_lo, 0, v12
	v_cmp_gt_i32_e64 s0, 31, v29
	v_cvt_f32_f16_e32 v16, v27
	v_cvt_f32_f16_e32 v22, v30
	v_lshrrev_b32_e32 v27, 16, v15
	v_cndmask_b32_e64 v9, 0, 1, vcc_lo
	v_cmp_eq_u32_e32 vcc_lo, 3, v13
	v_lshrrev_b32_e32 v13, 2, v19
	v_cndmask_b32_e64 v3, 0x7c00, v3, s0
	v_cmp_eq_u32_e64 s0, 0x40f, v29
	v_lshl_or_b32 v12, v9, 9, 0x7c00
	s_or_b32 vcc_lo, vcc_lo, s1
	v_cvt_f64_f32_e32 v[9:10], v10
	v_add_co_ci_u32_e32 v19, vcc_lo, 0, v13, vcc_lo
	v_cmp_ne_u32_e32 vcc_lo, 0, v14
	v_cndmask_b32_e64 v3, v3, v12, s0
	v_cvt_f64_f32_e32 v[12:13], v16
	v_sub_nc_u32_e32 v16, 0x3f1, v31
	v_or_b32_e32 v30, 0x1000, v24
	v_cndmask_b32_e64 v14, 0, 1, vcc_lo
	v_cmp_gt_i32_e32 vcc_lo, 31, v34
	v_and_or_b32 v3, 0x8000, v27, v3
	v_cvt_f64_f32_e32 v[22:23], v22
	v_lshrrev_b32_e32 v29, 16, v18
	v_lshl_or_b32 v14, v14, 9, 0x7c00
	v_cndmask_b32_e32 v19, 0x7c00, v19, vcc_lo
	v_cmp_eq_u32_e32 vcc_lo, 0x40f, v34
	v_and_b32_e32 v3, 0xffff, v3
	v_or_b32_e32 v28, 0x1000, v5
	v_cndmask_b32_e32 v14, v19, v14, vcc_lo
	v_and_or_b32 v19, 0x1ff, v26, v25
	v_med3_i32 v25, v16, 0, 13
	v_mul_f64 v[15:16], v[9:10], s[12:13]
	v_and_or_b32 v1, 0x8000, v29, v14
	v_cmp_ne_u32_e32 vcc_lo, 0, v19
	v_lshrrev_b32_e32 v27, v25, v30
	v_mul_f64 v[18:19], v[12:13], s[12:13]
	v_lshrrev_b32_e32 v12, 8, v26
	v_lshl_or_b32 v1, v1, 16, v3
	v_cndmask_b32_e64 v34, 0, 1, vcc_lo
	v_add_co_u32 v9, vcc_lo, v20, s10
	v_lshlrev_b32_e32 v20, v25, v27
	v_add_co_ci_u32_e32 v10, vcc_lo, s7, v21, vcc_lo
	v_mul_f64 v[13:14], v[22:23], s[12:13]
	v_add_co_u32 v22, s0, v9, s10
	v_cmp_ne_u32_e32 vcc_lo, v20, v30
	buffer_load_dword v30, off, s[20:23], 0 offset:104 ; 4-byte Folded Reload
	global_store_dword v[9:10], v1, off
	v_add_co_ci_u32_e64 v23, s0, s7, v10, s0
	v_and_or_b32 v1, 0x1ff, v16, v15
	v_lshrrev_b32_e32 v9, 8, v16
	v_lshrrev_b32_e32 v21, v33, v28
	v_and_or_b32 v25, 0xffe, v12, v34
	v_bfe_u32 v12, v26, 20, 11
	v_cmp_ne_u32_e64 s0, 0, v1
	v_and_or_b32 v3, 0x1ff, v19, v18
	v_lshrrev_b32_e32 v10, 8, v19
	v_add_nc_u32_e32 v18, 0xfffffc10, v32
	v_add_nc_u32_e32 v29, 0xfffffc10, v12
	v_cndmask_b32_e64 v1, 0, 1, s0
	v_cmp_ne_u32_e64 s0, 0, v3
	v_lshrrev_b32_e32 v32, 16, v26
	v_and_or_b32 v15, 0xffe, v9, v1
	v_and_or_b32 v9, 0x1ff, v14, v13
	v_cndmask_b32_e64 v3, 0, 1, s0
	v_lshlrev_b32_e32 v13, v33, v21
	v_bfe_u32 v33, v14, 20, 11
	v_cmp_ne_u32_e64 s0, 0, v9
	v_and_or_b32 v1, 0xffe, v10, v3
	v_sub_nc_u32_e32 v3, 0x3f1, v12
	v_lshrrev_b32_e32 v10, 8, v14
	v_cndmask_b32_e64 v9, 0, 1, s0
	v_cmp_ne_u32_e64 s0, v13, v28
	v_med3_i32 v20, v3, 0, 13
	v_and_or_b32 v3, 0xffe, v10, v9
	v_cndmask_b32_e64 v13, 0, 1, s0
	v_lshl_or_b32 v10, v18, 12, v5
	v_cmp_gt_i32_e64 s0, 1, v18
	v_or_b32_e32 v9, v21, v13
	v_or_b32_e32 v13, 0x1000, v25
	v_cndmask_b32_e64 v21, v10, v9, s0
	v_lshrrev_b32_e32 v28, v20, v13
	v_lshlrev_b32_e32 v9, v20, v28
	v_cmp_ne_u32_e64 s0, v9, v13
	ds_read2_b32 v[9:10], v191 offset0:106 offset1:155
	v_and_b32_e32 v13, 7, v21
	v_cmp_lt_i32_e64 s1, 5, v13
	v_cmp_eq_u32_e64 s2, 3, v13
	v_cndmask_b32_e64 v13, 0, 1, s0
	v_cmp_gt_i32_e64 s0, 1, v29
	v_or_b32_e32 v12, v28, v13
	v_lshl_or_b32 v13, v29, 12, v25
	v_cndmask_b32_e64 v20, v13, v12, s0
	s_waitcnt lgkmcnt(0)
	v_lshrrev_b32_e32 v12, 16, v9
	s_or_b32 s0, s2, s1
	s_waitcnt vmcnt(0)
	v_mul_f16_sdwa v13, v30, v9 dst_sel:DWORD dst_unused:UNUSED_PAD src0_sel:WORD_1 src1_sel:DWORD
	v_fma_f16 v28, v30, v12, -v13
	v_mul_f16_sdwa v12, v30, v12 dst_sel:DWORD dst_unused:UNUSED_PAD src0_sel:WORD_1 src1_sel:DWORD
	v_fmac_f16_e32 v12, v30, v9
	v_lshrrev_b32_e32 v9, 2, v21
	v_cvt_f32_f16_e32 v12, v12
	v_add_co_ci_u32_e64 v9, s0, 0, v9, s0
	v_cmp_ne_u32_e64 s0, 0, v5
	v_cvt_f64_f32_e32 v[12:13], v12
	v_cndmask_b32_e64 v5, 0, 1, s0
	v_cmp_gt_i32_e64 s0, 31, v18
	v_lshl_or_b32 v5, v5, 9, 0x7c00
	v_cndmask_b32_e64 v9, 0x7c00, v9, s0
	v_cmp_eq_u32_e64 s0, 0x40f, v18
	v_lshrrev_b32_e32 v18, 2, v20
	v_cndmask_b32_e64 v5, v9, v5, s0
	v_and_b32_e32 v9, 7, v20
	v_cmp_lt_i32_e64 s0, 5, v9
	v_cmp_eq_u32_e64 s1, 3, v9
	v_bfe_u32 v9, v16, 20, 11
	v_lshrrev_b32_e32 v16, 16, v16
	s_or_b32 s0, s1, s0
	v_sub_nc_u32_e32 v20, 0x3f1, v9
	v_add_co_ci_u32_e64 v18, s0, 0, v18, s0
	v_cmp_ne_u32_e64 s0, 0, v25
	v_med3_i32 v30, v20, 0, 13
	v_mul_f64 v[20:21], v[12:13], s[12:13]
	v_cndmask_b32_e64 v25, 0, 1, s0
	v_cmp_gt_i32_e64 s0, 31, v29
	v_lshl_or_b32 v13, v25, 9, 0x7c00
	v_cndmask_b32_e64 v12, 0x7c00, v18, s0
	v_cmp_eq_u32_e64 s0, 0x40f, v29
	v_or_b32_e32 v18, 0x1000, v15
	v_add_nc_u32_e32 v25, 0xfffffc10, v31
	v_cndmask_b32_e64 v29, v12, v13, s0
	v_lshrrev_b32_e32 v12, v30, v18
	v_cndmask_b32_e64 v13, 0, 1, vcc_lo
	v_lshlrev_b32_e32 v26, v30, v12
	v_or_b32_e32 v13, v27, v13
	v_lshl_or_b32 v27, v25, 12, v24
	v_and_or_b32 v30, 0x8000, v6, v5
	v_lshrrev_b32_e32 v6, 16, v8
	v_cmp_ne_u32_e32 vcc_lo, v26, v18
	v_add_nc_u32_e32 v26, 0xfffffc10, v9
	v_and_or_b32 v9, 0x1ff, v21, v20
	v_lshrrev_b32_e32 v20, 8, v21
	v_cndmask_b32_e64 v18, 0, 1, vcc_lo
	v_cmp_gt_i32_e32 vcc_lo, 1, v25
	v_or_b32_e32 v12, v12, v18
	v_cndmask_b32_e32 v13, v27, v13, vcc_lo
	buffer_load_dword v27, off, s[20:23], 0 offset:100 ; 4-byte Folded Reload
	v_cmp_ne_u32_e32 vcc_lo, 0, v9
	v_lshl_or_b32 v18, v26, 12, v15
	v_cndmask_b32_e64 v9, 0, 1, vcc_lo
	v_cmp_gt_i32_e32 vcc_lo, 1, v26
	v_and_or_b32 v9, 0xffe, v20, v9
	v_cndmask_b32_e32 v12, v18, v12, vcc_lo
	v_and_b32_e32 v18, 7, v13
	v_lshrrev_b32_e32 v13, 2, v13
	v_bfe_u32 v20, v19, 20, 11
	v_or_b32_e32 v35, 0x1000, v9
	v_and_b32_e32 v5, 7, v12
	v_cmp_lt_i32_e32 vcc_lo, 5, v18
	v_cmp_eq_u32_e64 s0, 3, v18
	v_lshrrev_b32_e32 v12, 2, v12
	v_lshrrev_b32_e32 v19, 16, v19
	v_cmp_lt_i32_e64 s1, 5, v5
	v_cmp_eq_u32_e64 s2, 3, v5
	s_or_b32 vcc_lo, s0, vcc_lo
	v_add_co_ci_u32_e32 v5, vcc_lo, 0, v13, vcc_lo
	v_cmp_ne_u32_e32 vcc_lo, 0, v24
	v_sub_nc_u32_e32 v24, 0x3f1, v20
	v_add_nc_u32_e32 v20, 0xfffffc10, v20
	v_cndmask_b32_e64 v13, 0, 1, vcc_lo
	v_cmp_gt_i32_e32 vcc_lo, 31, v25
	v_med3_i32 v31, v24, 0, 13
	v_cvt_f32_f16_e32 v24, v28
	v_bfe_u32 v28, v21, 20, 11
	v_lshl_or_b32 v13, v13, 9, 0x7c00
	v_cndmask_b32_e32 v5, 0x7c00, v5, vcc_lo
	v_cmp_eq_u32_e32 vcc_lo, 0x40f, v25
	s_waitcnt vmcnt(0)
	v_mul_f16_sdwa v18, v27, v6 dst_sel:DWORD dst_unused:UNUSED_PAD src0_sel:WORD_1 src1_sel:DWORD
	v_mov_b32_e32 v34, v27
	v_fmac_f16_e32 v18, v27, v8
	v_mul_f16_sdwa v8, v27, v8 dst_sel:DWORD dst_unused:UNUSED_PAD src0_sel:WORD_1 src1_sel:DWORD
	v_cndmask_b32_e32 v27, v5, v13, vcc_lo
	s_or_b32 vcc_lo, s2, s1
	v_cvt_f32_f16_e32 v13, v18
	v_fma_f16 v8, v34, v6, -v8
	v_cvt_f64_f32_e32 v[5:6], v24
	v_add_co_ci_u32_e32 v18, vcc_lo, 0, v12, vcc_lo
	v_cvt_f64_f32_e32 v[12:13], v13
	v_cmp_ne_u32_e32 vcc_lo, 0, v15
	v_cvt_f32_f16_e32 v8, v8
	v_and_or_b32 v17, 0x8000, v17, v27
	v_or_b32_e32 v34, 0x1000, v1
	v_cndmask_b32_e64 v15, 0, 1, vcc_lo
	v_cmp_gt_i32_e32 vcc_lo, 31, v26
	v_cvt_f64_f32_e32 v[24:25], v8
	v_sub_nc_u32_e32 v8, 0x3f1, v28
	v_add_nc_u32_e32 v28, 0xfffffc10, v28
	v_lshl_or_b32 v15, v15, 9, 0x7c00
	v_cndmask_b32_e32 v18, 0x7c00, v18, vcc_lo
	v_cmp_eq_u32_e32 vcc_lo, 0x40f, v26
	v_med3_i32 v8, v8, 0, 13
	v_cndmask_b32_e32 v15, v18, v15, vcc_lo
	v_sub_nc_u32_e32 v18, 0x3f1, v33
	v_mul_f64 v[26:27], v[5:6], s[12:13]
	v_and_or_b32 v5, 0x8000, v32, v29
	v_lshrrev_b32_e32 v29, v8, v35
	v_and_or_b32 v15, 0x8000, v16, v15
	v_med3_i32 v36, v18, 0, 13
	v_and_b32_e32 v16, 0xffff, v17
	v_mul_f64 v[17:18], v[12:13], s[12:13]
	v_and_b32_e32 v6, 0xffff, v30
	v_lshlrev_b32_e32 v8, v8, v29
	v_or_b32_e32 v30, 0x1000, v3
	v_lshl_or_b32 v13, v15, 16, v16
	v_mul_f64 v[15:16], v[24:25], s[12:13]
	v_lshl_or_b32 v12, v5, 16, v6
	v_add_co_u32 v5, vcc_lo, v22, s10
	v_add_co_ci_u32_e32 v6, vcc_lo, s7, v23, vcc_lo
	v_cmp_ne_u32_e32 vcc_lo, v8, v35
	global_store_dword v[22:23], v12, off
	v_add_co_u32 v22, s0, v5, s8
	v_add_co_ci_u32_e64 v23, s0, s9, v6, s0
	v_and_or_b32 v8, 0x1ff, v27, v26
	v_lshrrev_b32_e32 v12, v31, v34
	global_store_dword v[5:6], v13, off
	v_lshrrev_b32_e32 v24, v36, v30
	v_lshrrev_b32_e32 v6, 8, v27
	v_cmp_ne_u32_e64 s0, 0, v8
	v_and_or_b32 v8, 0x1ff, v18, v17
	v_lshlrev_b32_e32 v13, v31, v12
	v_lshlrev_b32_e32 v17, v36, v24
	v_lshrrev_b32_e32 v26, 8, v18
	v_cndmask_b32_e64 v5, 0, 1, s0
	v_cmp_ne_u32_e64 s0, 0, v8
	v_and_or_b32 v15, 0x1ff, v16, v15
	v_lshrrev_b32_e32 v31, 8, v16
	v_and_or_b32 v25, 0xffe, v6, v5
	v_cndmask_b32_e64 v8, 0, 1, s0
	v_cmp_ne_u32_e64 s0, v13, v34
	ds_read2_b32 v[5:6], v183 offset0:152 offset1:201
	v_cndmask_b32_e64 v13, 0, 1, s0
	v_cmp_ne_u32_e64 s0, 0, v15
	v_or_b32_e32 v12, v12, v13
	v_cndmask_b32_e64 v15, 0, 1, s0
	v_cmp_ne_u32_e64 s0, v17, v30
	v_lshl_or_b32 v13, v20, 12, v1
	v_add_nc_u32_e32 v30, 0xfffffc10, v33
	v_cndmask_b32_e64 v17, 0, 1, s0
	v_cmp_gt_i32_e64 s0, 1, v20
	v_lshl_or_b32 v32, v30, 12, v3
	v_cndmask_b32_e64 v12, v13, v12, s0
	v_or_b32_e32 v13, v24, v17
	v_cmp_gt_i32_e64 s0, 1, v30
	v_and_or_b32 v17, 0xffe, v31, v15
	v_and_or_b32 v24, 0xffe, v26, v8
	v_and_b32_e32 v8, 7, v12
	v_lshrrev_b32_e32 v12, 2, v12
	v_cndmask_b32_e64 v15, v32, v13, s0
	buffer_load_dword v32, off, s[20:23], 0 offset:96 ; 4-byte Folded Reload
	s_waitcnt lgkmcnt(0)
	v_lshrrev_b32_e32 v13, 16, v5
	v_cmp_lt_i32_e64 s0, 5, v8
	v_cmp_eq_u32_e64 s1, 3, v8
	v_bfe_u32 v31, v27, 20, 11
	v_lshrrev_b32_e32 v27, 16, v27
	v_or_b32_e32 v33, 0x1000, v24
	v_or_b32_e32 v36, 0x1000, v17
	s_or_b32 s0, s1, s0
	v_cmp_gt_i32_e64 s1, 31, v28
	s_waitcnt vmcnt(0)
	v_mul_f16_sdwa v26, v32, v5 dst_sel:DWORD dst_unused:UNUSED_PAD src0_sel:WORD_1 src1_sel:DWORD
	v_mul_f16_sdwa v8, v32, v13 dst_sel:DWORD dst_unused:UNUSED_PAD src0_sel:WORD_1 src1_sel:DWORD
	v_fma_f16 v26, v32, v13, -v26
	v_fmac_f16_e32 v8, v32, v5
	v_add_co_ci_u32_e64 v32, s0, 0, v12, s0
	v_cmp_ne_u32_e64 s0, 0, v1
	v_and_b32_e32 v13, 7, v15
	v_cvt_f32_f16_e32 v8, v8
	v_sub_nc_u32_e32 v5, 0x3f1, v31
	v_cndmask_b32_e64 v1, 0, 1, s0
	v_cmp_gt_i32_e64 s0, 31, v20
	v_cmp_lt_i32_e64 s2, 5, v13
	v_cmp_eq_u32_e64 s3, 3, v13
	v_cvt_f64_f32_e32 v[12:13], v8
	v_lshl_or_b32 v1, v1, 9, 0x7c00
	v_cndmask_b32_e64 v8, 0x7c00, v32, s0
	v_cmp_eq_u32_e64 s0, 0x40f, v20
	v_med3_i32 v5, v5, 0, 13
	v_or_b32_e32 v20, 0x1000, v25
	v_bfe_u32 v32, v18, 20, 11
	v_cndmask_b32_e64 v1, v8, v1, s0
	v_lshrrev_b32_e32 v8, 2, v15
	s_or_b32 s0, s3, s2
	v_lshrrev_b32_e32 v15, v5, v20
	v_and_or_b32 v19, 0x8000, v19, v1
	v_add_co_ci_u32_e64 v8, s0, 0, v8, s0
	v_cmp_ne_u32_e64 s0, 0, v3
	v_lshlrev_b32_e32 v5, v5, v15
	v_cndmask_b32_e64 v3, 0, 1, s0
	v_cmp_gt_i32_e64 s0, 31, v30
	v_mul_f64 v[12:13], v[12:13], s[12:13]
	v_lshl_or_b32 v3, v3, 9, 0x7c00
	v_cndmask_b32_e64 v8, 0x7c00, v8, s0
	v_cmp_eq_u32_e64 s0, 0x40f, v30
	v_sub_nc_u32_e32 v30, 0x3f1, v32
	v_cndmask_b32_e64 v3, v8, v3, s0
	v_lshrrev_b32_e32 v8, 16, v14
	v_cndmask_b32_e64 v14, 0, 1, vcc_lo
	v_cmp_ne_u32_e32 vcc_lo, v5, v20
	v_add_nc_u32_e32 v20, 0xfffffc10, v31
	buffer_load_dword v31, off, s[20:23], 0 offset:92 ; 4-byte Folded Reload
	v_and_or_b32 v3, 0x8000, v8, v3
	v_or_b32_e32 v1, v29, v14
	v_lshl_or_b32 v8, v28, 12, v9
	v_cndmask_b32_e64 v5, 0, 1, vcc_lo
	v_cmp_gt_i32_e32 vcc_lo, 1, v28
	v_med3_i32 v30, v30, 0, 13
	v_and_or_b32 v12, 0x1ff, v13, v12
	v_bfe_u32 v29, v16, 20, 11
	v_cndmask_b32_e32 v8, v8, v1, vcc_lo
	v_or_b32_e32 v1, v15, v5
	v_cmp_ne_u32_e32 vcc_lo, 0, v12
	v_lshl_or_b32 v5, v20, 12, v25
	v_lshrrev_b32_e32 v15, 8, v13
	v_and_b32_e32 v14, 7, v8
	v_lshrrev_b32_e32 v8, 2, v8
	v_cndmask_b32_e64 v12, 0, 1, vcc_lo
	v_cmp_gt_i32_e32 vcc_lo, 1, v20
	v_lshrrev_b32_e32 v34, v30, v33
	v_cmp_eq_u32_e64 s0, 3, v14
	v_cndmask_b32_e32 v5, v5, v1, vcc_lo
	v_cmp_lt_i32_e32 vcc_lo, 5, v14
	v_and_or_b32 v1, 0xffe, v15, v12
	v_cvt_f32_f16_e32 v15, v26
	v_lshrrev_b32_e32 v12, 16, v7
	v_and_b32_e32 v14, 7, v5
	s_or_b32 vcc_lo, s0, vcc_lo
	v_lshrrev_b32_e32 v5, 2, v5
	v_add_co_ci_u32_e32 v8, vcc_lo, 0, v8, vcc_lo
	v_cmp_ne_u32_e32 vcc_lo, 0, v9
	v_cmp_eq_u32_e64 s0, 3, v14
	v_lshlrev_b32_e32 v30, v30, v34
	v_cndmask_b32_e64 v8, 0x7c00, v8, s1
	v_cmp_eq_u32_e64 s1, 0x40f, v28
	v_cndmask_b32_e64 v9, 0, 1, vcc_lo
	v_cmp_lt_i32_e32 vcc_lo, 5, v14
	v_sub_nc_u32_e32 v26, 0x3f1, v29
	v_lshl_or_b32 v9, v9, 9, 0x7c00
	s_or_b32 vcc_lo, s0, vcc_lo
	v_med3_i32 v26, v26, 0, 13
	v_add_co_ci_u32_e32 v5, vcc_lo, 0, v5, vcc_lo
	v_cndmask_b32_e64 v28, v8, v9, s1
	v_cvt_f64_f32_e32 v[8:9], v15
	v_cmp_ne_u32_e32 vcc_lo, 0, v25
	v_lshrrev_b32_e32 v25, 16, v21
	v_cndmask_b32_e64 v15, 0, 1, vcc_lo
	v_cmp_gt_i32_e32 vcc_lo, 31, v20
	v_lshl_or_b32 v21, v15, 9, 0x7c00
	v_cndmask_b32_e32 v5, 0x7c00, v5, vcc_lo
	v_cmp_eq_u32_e32 vcc_lo, 0x40f, v20
	v_cndmask_b32_e32 v5, v5, v21, vcc_lo
	v_mul_f64 v[20:21], v[8:9], s[12:13]
	v_and_or_b32 v8, 0x8000, v25, v28
	v_and_b32_e32 v9, 0xffff, v19
	v_and_or_b32 v5, 0x8000, v27, v5
	v_lshrrev_b32_e32 v27, v26, v36
	v_or_b32_e32 v25, 0x1000, v1
	v_and_b32_e32 v8, 0xffff, v8
	v_lshl_or_b32 v3, v3, 16, v9
	v_lshlrev_b32_e32 v26, v26, v27
	v_lshl_or_b32 v5, v5, 16, v8
	global_store_dword v[22:23], v3, off
	s_waitcnt vmcnt(0)
	v_mul_f16_sdwa v14, v31, v12 dst_sel:DWORD dst_unused:UNUSED_PAD src0_sel:WORD_1 src1_sel:DWORD
	v_mov_b32_e32 v37, v31
	v_fmac_f16_e32 v14, v31, v7
	v_mul_f16_sdwa v9, v37, v7 dst_sel:DWORD dst_unused:UNUSED_PAD src0_sel:WORD_1 src1_sel:DWORD
	v_add_co_u32 v7, vcc_lo, v22, s10
	v_add_co_ci_u32_e32 v8, vcc_lo, s7, v23, vcc_lo
	v_fma_f16 v3, v37, v12, -v9
	v_add_co_u32 v22, vcc_lo, v7, s10
	global_store_dword v[7:8], v5, off
	v_and_or_b32 v5, 0x1ff, v21, v20
	v_add_co_ci_u32_e32 v23, vcc_lo, s7, v8, vcc_lo
	v_cvt_f32_f16_e32 v3, v3
	v_cvt_f32_f16_e32 v14, v14
	v_cmp_ne_u32_e32 vcc_lo, 0, v5
	v_bfe_u32 v31, v13, 20, 11
	v_lshrrev_b32_e32 v9, 8, v21
	v_cvt_f64_f32_e32 v[7:8], v3
	v_cvt_f64_f32_e32 v[14:15], v14
	v_cndmask_b32_e64 v5, 0, 1, vcc_lo
	v_cmp_ne_u32_e32 vcc_lo, v30, v33
	v_sub_nc_u32_e32 v35, 0x3f1, v31
	v_add_nc_u32_e32 v30, 0xfffffc10, v32
	v_bfe_u32 v12, v21, 20, 11
	v_and_or_b32 v32, 0xffe, v9, v5
	v_cndmask_b32_e64 v3, 0, 1, vcc_lo
	v_med3_i32 v19, v35, 0, 13
	v_lshl_or_b32 v9, v30, 12, v24
	v_sub_nc_u32_e32 v5, 0x3f1, v12
	v_cmp_gt_i32_e64 s1, 31, v30
	v_or_b32_e32 v3, v34, v3
	buffer_load_dword v34, off, s[20:23], 0 offset:88 ; 4-byte Folded Reload
	v_lshrrev_b32_e32 v28, v19, v25
	v_lshlrev_b32_e32 v35, v19, v28
	v_mul_f64 v[14:15], v[14:15], s[12:13]
	v_and_or_b32 v14, 0x1ff, v15, v14
	v_lshrrev_b32_e32 v19, 8, v15
	v_cmp_ne_u32_e32 vcc_lo, 0, v14
	v_cndmask_b32_e64 v14, 0, 1, vcc_lo
	v_cmp_gt_i32_e32 vcc_lo, 1, v30
	v_cndmask_b32_e32 v33, v9, v3, vcc_lo
	v_cmp_ne_u32_e32 vcc_lo, v26, v36
	v_add_nc_u32_e32 v26, 0xfffffc10, v29
	v_med3_i32 v29, v5, 0, 13
	v_and_or_b32 v5, 0xffe, v19, v14
	v_and_b32_e32 v9, 7, v33
	v_cndmask_b32_e64 v3, 0, 1, vcc_lo
	v_cmp_gt_i32_e64 s0, 1, v26
	v_mul_f64 v[19:20], v[7:8], s[12:13]
	v_lshrrev_b32_e32 v36, 16, v16
	v_cmp_lt_i32_e32 vcc_lo, 5, v9
	v_or_b32_e32 v14, v27, v3
	v_lshl_or_b32 v27, v26, 12, v17
	v_bfe_u32 v3, v15, 20, 11
	v_or_b32_e32 v37, 0x1000, v5
	v_lshrrev_b32_e32 v15, 16, v15
	v_cndmask_b32_e64 v7, v27, v14, s0
	v_cmp_eq_u32_e64 s0, 3, v9
	ds_read2_b32 v[8:9], v188 offset0:70 offset1:119
	v_lshrrev_b32_e32 v14, 2, v33
	v_sub_nc_u32_e32 v27, 0x3f1, v3
	v_and_b32_e32 v33, 7, v7
	s_or_b32 vcc_lo, s0, vcc_lo
	v_lshrrev_b32_e32 v7, 2, v7
	v_add_co_ci_u32_e32 v14, vcc_lo, 0, v14, vcc_lo
	v_cmp_ne_u32_e32 vcc_lo, 0, v24
	v_cmp_eq_u32_e64 s0, 3, v33
	v_med3_i32 v27, v27, 0, 13
	v_cndmask_b32_e64 v14, 0x7c00, v14, s1
	v_cmp_eq_u32_e64 s1, 0x40f, v30
	v_cndmask_b32_e64 v24, 0, 1, vcc_lo
	v_cmp_lt_i32_e32 vcc_lo, 5, v33
	v_and_or_b32 v19, 0x1ff, v20, v19
	v_or_b32_e32 v33, 0x1000, v32
	v_lshl_or_b32 v24, v24, 9, 0x7c00
	s_or_b32 vcc_lo, s0, vcc_lo
	s_waitcnt lgkmcnt(0)
	v_lshrrev_b32_e32 v30, 16, v8
	v_add_co_ci_u32_e32 v7, vcc_lo, 0, v7, vcc_lo
	v_cmp_ne_u32_e32 vcc_lo, 0, v17
	v_lshrrev_b32_e32 v17, 16, v18
	v_cndmask_b32_e64 v24, v14, v24, s1
	v_cndmask_b32_e64 v14, 0, 1, vcc_lo
	v_cmp_gt_i32_e32 vcc_lo, 31, v26
	v_lshl_or_b32 v14, v14, 9, 0x7c00
	v_cndmask_b32_e32 v7, 0x7c00, v7, vcc_lo
	v_cmp_ne_u32_e32 vcc_lo, 0, v19
	v_cndmask_b32_e64 v19, 0, 1, vcc_lo
	v_cmp_eq_u32_e32 vcc_lo, 0x40f, v26
	v_lshrrev_b32_e32 v26, 8, v20
	v_cndmask_b32_e32 v7, v7, v14, vcc_lo
	v_and_or_b32 v14, 0xffe, v26, v19
	v_and_or_b32 v19, 0x8000, v17, v24
	v_lshrrev_b32_e32 v24, v29, v33
	v_cmp_ne_u32_e32 vcc_lo, v35, v25
	v_and_or_b32 v7, 0x8000, v36, v7
	v_lshrrev_b32_e32 v25, v27, v37
	v_and_b32_e32 v19, 0xffff, v19
	v_or_b32_e32 v35, 0x1000, v14
	v_lshl_or_b32 v7, v7, 16, v19
	v_lshlrev_b32_e32 v19, v27, v25
	global_store_dword v[22:23], v7, off
	v_cndmask_b32_e64 v7, 0, 1, vcc_lo
	v_or_b32_e32 v7, v28, v7
	s_waitcnt vmcnt(0)
	v_mul_f16_sdwa v18, v34, v30 dst_sel:DWORD dst_unused:UNUSED_PAD src0_sel:WORD_1 src1_sel:DWORD
	v_mov_b32_e32 v38, v34
	v_fmac_f16_e32 v18, v34, v8
	v_mul_f16_sdwa v8, v38, v8 dst_sel:DWORD dst_unused:UNUSED_PAD src0_sel:WORD_1 src1_sel:DWORD
	v_bfe_u32 v34, v20, 20, 11
	v_lshrrev_b32_e32 v20, 16, v20
	v_cvt_f32_f16_e32 v18, v18
	v_fma_f16 v8, v38, v30, -v8
	buffer_load_dword v30, off, s[20:23], 0 offset:84 ; 4-byte Folded Reload
	v_cvt_f64_f32_e32 v[16:17], v18
	v_sub_nc_u32_e32 v18, 0x3f1, v34
	v_cvt_f32_f16_e32 v8, v8
	v_med3_i32 v26, v18, 0, 13
	v_lshlrev_b32_e32 v18, v29, v24
	v_add_nc_u32_e32 v29, 0xfffffc10, v31
	v_add_nc_u32_e32 v31, 0xfffffc10, v12
	v_lshrrev_b32_e32 v36, v26, v35
	v_cmp_ne_u32_e32 vcc_lo, v18, v33
	v_lshl_or_b32 v12, v29, 12, v1
	v_cndmask_b32_e64 v27, 0, 1, vcc_lo
	v_cmp_gt_i32_e32 vcc_lo, 1, v29
	v_mul_f64 v[17:18], v[16:17], s[12:13]
	v_cndmask_b32_e32 v7, v12, v7, vcc_lo
	v_or_b32_e32 v16, v24, v27
	v_lshl_or_b32 v24, v31, 12, v32
	v_cmp_gt_i32_e32 vcc_lo, 1, v31
	v_lshrrev_b32_e32 v27, 16, v11
	v_and_b32_e32 v12, 7, v7
	v_cndmask_b32_e32 v16, v24, v16, vcc_lo
	v_lshlrev_b32_e32 v24, v26, v36
	v_cmp_lt_i32_e32 vcc_lo, 5, v12
	v_cmp_eq_u32_e64 s0, 3, v12
	v_lshrrev_b32_e32 v12, 2, v7
	v_and_b32_e32 v28, 7, v16
	v_cvt_f64_f32_e32 v[7:8], v8
	v_lshrrev_b32_e32 v16, 2, v16
	s_or_b32 vcc_lo, s0, vcc_lo
	v_cmp_lt_i32_e64 s1, 5, v28
	v_cmp_eq_u32_e64 s2, 3, v28
	v_add_co_ci_u32_e32 v28, vcc_lo, 0, v12, vcc_lo
	v_cmp_gt_i32_e32 vcc_lo, 31, v29
	v_cndmask_b32_e32 v28, 0x7c00, v28, vcc_lo
	v_cmp_ne_u32_e32 vcc_lo, 0, v1
	v_cndmask_b32_e64 v1, 0, 1, vcc_lo
	s_or_b32 vcc_lo, s2, s1
	v_add_co_ci_u32_e32 v16, vcc_lo, 0, v16, vcc_lo
	v_cmp_ne_u32_e32 vcc_lo, 0, v32
	v_lshl_or_b32 v1, v1, 9, 0x7c00
	s_waitcnt vmcnt(0)
	v_mul_f16_sdwa v26, v30, v27 dst_sel:DWORD dst_unused:UNUSED_PAD src0_sel:WORD_1 src1_sel:DWORD
	v_mov_b32_e32 v33, v30
	v_fmac_f16_e32 v26, v30, v11
	v_and_or_b32 v30, 0x1ff, v18, v17
	v_mul_f16_sdwa v17, v33, v11 dst_sel:DWORD dst_unused:UNUSED_PAD src0_sel:WORD_1 src1_sel:DWORD
	v_cvt_f32_f16_e32 v26, v26
	v_fma_f16 v17, v33, v27, -v17
	v_cvt_f64_f32_e32 v[11:12], v26
	v_cndmask_b32_e64 v26, 0, 1, vcc_lo
	v_cvt_f32_f16_e32 v17, v17
	v_cmp_gt_i32_e32 vcc_lo, 31, v31
	v_lshl_or_b32 v33, v26, 9, 0x7c00
	v_mul_f64 v[26:27], v[7:8], s[12:13]
	v_cndmask_b32_e32 v32, 0x7c00, v16, vcc_lo
	v_cvt_f64_f32_e32 v[16:17], v17
	v_cmp_eq_u32_e32 vcc_lo, 0x40f, v29
	v_lshrrev_b32_e32 v7, 16, v13
	v_cndmask_b32_e32 v1, v28, v1, vcc_lo
	v_cmp_eq_u32_e32 vcc_lo, 0x40f, v31
	v_lshrrev_b32_e32 v28, 8, v18
	v_and_or_b32 v1, 0x8000, v7, v1
	v_cndmask_b32_e32 v8, v32, v33, vcc_lo
	v_mul_f64 v[12:13], v[11:12], s[12:13]
	v_cmp_ne_u32_e32 vcc_lo, 0, v30
	v_lshrrev_b32_e32 v11, 16, v21
	v_and_b32_e32 v1, 0xffff, v1
	v_bfe_u32 v30, v18, 20, 11
	v_cndmask_b32_e64 v7, 0, 1, vcc_lo
	v_and_or_b32 v8, 0x8000, v11, v8
	v_add_co_u32 v21, vcc_lo, v22, s10
	v_mul_f64 v[16:17], v[16:17], s[12:13]
	v_and_or_b32 v31, 0xffe, v28, v7
	v_and_or_b32 v7, 0x1ff, v27, v26
	v_add_co_ci_u32_e32 v22, vcc_lo, s7, v23, vcc_lo
	v_lshl_or_b32 v1, v8, 16, v1
	v_sub_nc_u32_e32 v11, 0x3f1, v30
	v_cmp_ne_u32_e32 vcc_lo, 0, v7
	v_bfe_u32 v33, v27, 20, 11
	v_or_b32_e32 v32, 0x1000, v31
	global_store_dword v[21:22], v1, off
	v_med3_i32 v23, v11, 0, 13
	v_and_or_b32 v8, 0x1ff, v13, v12
	v_cndmask_b32_e64 v1, 0, 1, vcc_lo
	v_lshrrev_b32_e32 v11, 8, v27
	v_lshrrev_b32_e32 v26, 8, v13
	;; [unrolled: 1-line block ×3, first 2 shown]
	v_cmp_ne_u32_e32 vcc_lo, 0, v8
	ds_read2_b32 v[7:8], v132 offset0:196 offset1:245
	v_and_or_b32 v39, 0xffe, v11, v1
	v_cndmask_b32_e64 v12, 0, 1, vcc_lo
	v_add_co_u32 v28, vcc_lo, v21, s10
	v_add_co_ci_u32_e32 v29, vcc_lo, s7, v22, vcc_lo
	v_and_or_b32 v11, 0x1ff, v17, v16
	v_cmp_ne_u32_e32 vcc_lo, v19, v37
	v_add_nc_u32_e32 v19, 0xfffffc10, v3
	v_and_or_b32 v1, 0xffe, v26, v12
	v_sub_nc_u32_e32 v12, 0x3f1, v33
	v_add_nc_u32_e32 v33, 0xfffffc10, v33
	v_cndmask_b32_e64 v16, 0, 1, vcc_lo
	v_cmp_ne_u32_e32 vcc_lo, 0, v11
	v_lshrrev_b32_e32 v11, 8, v17
	v_lshl_or_b32 v21, v19, 12, v5
	v_cmp_gt_i32_e64 s1, 31, v19
	v_or_b32_e32 v16, v25, v16
	v_cndmask_b32_e64 v3, 0, 1, vcc_lo
	v_cmp_ne_u32_e32 vcc_lo, v24, v35
	buffer_load_dword v35, off, s[20:23], 0 offset:80 ; 4-byte Folded Reload
	s_waitcnt lgkmcnt(0)
	v_lshrrev_b32_e32 v24, 16, v7
	v_add_nc_u32_e32 v25, 0xfffffc10, v34
	v_and_or_b32 v3, 0xffe, v11, v3
	v_cndmask_b32_e64 v22, 0, 1, vcc_lo
	v_cmp_gt_i32_e32 vcc_lo, 1, v19
	v_med3_i32 v34, v12, 0, 13
	v_cndmask_b32_e32 v16, v21, v16, vcc_lo
	v_or_b32_e32 v21, v36, v22
	v_lshl_or_b32 v22, v25, 12, v14
	v_cmp_gt_i32_e32 vcc_lo, 1, v25
	v_or_b32_e32 v36, 0x1000, v39
	v_and_b32_e32 v26, 7, v16
	v_lshrrev_b32_e32 v16, 2, v16
	v_cndmask_b32_e32 v21, v22, v21, vcc_lo
	v_lshrrev_b32_e32 v37, v34, v36
	v_cmp_lt_i32_e32 vcc_lo, 5, v26
	v_cmp_eq_u32_e64 s0, 3, v26
	v_and_b32_e32 v22, 7, v21
	v_lshrrev_b32_e32 v21, 2, v21
	v_lshlrev_b32_e32 v34, v34, v37
	s_or_b32 vcc_lo, s0, vcc_lo
	v_add_co_ci_u32_e32 v16, vcc_lo, 0, v16, vcc_lo
	v_cmp_ne_u32_e32 vcc_lo, 0, v5
	v_cmp_eq_u32_e64 s0, 3, v22
	v_cndmask_b32_e64 v16, 0x7c00, v16, s1
	v_cmp_eq_u32_e64 s1, 0x40f, v19
	v_cndmask_b32_e64 v5, 0, 1, vcc_lo
	v_cmp_lt_i32_e32 vcc_lo, 5, v22
	v_lshl_or_b32 v5, v5, 9, 0x7c00
	s_or_b32 vcc_lo, s0, vcc_lo
	v_add_co_ci_u32_e32 v21, vcc_lo, 0, v21, vcc_lo
	v_cmp_ne_u32_e32 vcc_lo, 0, v14
	v_cndmask_b32_e64 v5, v16, v5, s1
	v_bfe_u32 v16, v17, 20, 11
	v_cndmask_b32_e64 v14, 0, 1, vcc_lo
	v_cmp_gt_i32_e32 vcc_lo, 31, v25
	v_and_or_b32 v5, 0x8000, v15, v5
	v_lshlrev_b32_e32 v15, v23, v38
	v_sub_nc_u32_e32 v22, 0x3f1, v16
	v_lshl_or_b32 v14, v14, 9, 0x7c00
	v_cndmask_b32_e32 v21, 0x7c00, v21, vcc_lo
	v_cmp_eq_u32_e32 vcc_lo, 0x40f, v25
	v_or_b32_e32 v25, 0x1000, v1
	v_and_b32_e32 v5, 0xffff, v5
	v_med3_i32 v40, v22, 0, 13
	v_or_b32_e32 v22, 0x1000, v3
	v_cndmask_b32_e32 v14, v21, v14, vcc_lo
	v_cmp_ne_u32_e32 vcc_lo, v15, v32
	v_add_nc_u32_e32 v16, 0xfffffc10, v16
	v_lshrrev_b32_e32 v21, v40, v22
	v_and_or_b32 v14, 0x8000, v20, v14
	v_cndmask_b32_e64 v15, 0, 1, vcc_lo
	v_lshl_or_b32 v20, v33, 12, v39
	v_lshlrev_b32_e32 v23, v40, v21
	v_lshl_or_b32 v32, v14, 16, v5
	global_store_dword v[28:29], v32, off
	s_waitcnt vmcnt(0)
	v_mul_f16_sdwa v11, v35, v24 dst_sel:DWORD dst_unused:UNUSED_PAD src0_sel:WORD_1 src1_sel:DWORD
	v_mul_f16_sdwa v12, v35, v7 dst_sel:DWORD dst_unused:UNUSED_PAD src0_sel:WORD_1 src1_sel:DWORD
	v_fmac_f16_e32 v11, v35, v7
	v_fma_f16 v35, v35, v24, -v12
	v_bfe_u32 v7, v13, 20, 11
	v_cvt_f32_f16_e32 v11, v11
	v_sub_nc_u32_e32 v19, 0x3f1, v7
	v_add_nc_u32_e32 v7, 0xfffffc10, v7
	v_cvt_f64_f32_e32 v[11:12], v11
	v_med3_i32 v19, v19, 0, 13
	v_lshrrev_b32_e32 v24, v19, v25
	v_lshlrev_b32_e32 v26, v19, v24
	v_add_nc_u32_e32 v19, 0xfffffc10, v30
	v_lshl_or_b32 v14, v19, 12, v31
	v_cmp_gt_i32_e64 s1, 31, v19
	v_mul_f64 v[11:12], v[11:12], s[12:13]
	v_and_or_b32 v11, 0x1ff, v12, v11
	v_cmp_ne_u32_e32 vcc_lo, 0, v11
	v_or_b32_e32 v11, v38, v15
	v_cndmask_b32_e64 v5, 0, 1, vcc_lo
	v_cmp_ne_u32_e32 vcc_lo, v34, v36
	v_lshrrev_b32_e32 v34, 16, v10
	v_cndmask_b32_e64 v15, 0, 1, vcc_lo
	v_cmp_gt_i32_e32 vcc_lo, 1, v19
	v_or_b32_e32 v15, v37, v15
	v_cndmask_b32_e32 v11, v14, v11, vcc_lo
	v_lshrrev_b32_e32 v14, 8, v12
	v_cmp_gt_i32_e32 vcc_lo, 1, v33
	v_and_b32_e32 v30, 7, v11
	v_and_or_b32 v5, 0xffe, v14, v5
	buffer_load_dword v14, off, s[20:23], 0 offset:76 ; 4-byte Folded Reload
	v_cndmask_b32_e32 v20, v20, v15, vcc_lo
	v_lshrrev_b32_e32 v11, 2, v11
	v_cmp_lt_i32_e32 vcc_lo, 5, v30
	v_cmp_eq_u32_e64 s0, 3, v30
	v_and_b32_e32 v30, 7, v20
	v_lshrrev_b32_e32 v20, 2, v20
	s_or_b32 vcc_lo, s0, vcc_lo
	v_add_co_ci_u32_e32 v11, vcc_lo, 0, v11, vcc_lo
	v_cmp_ne_u32_e32 vcc_lo, 0, v31
	v_cmp_eq_u32_e64 s0, 3, v30
	v_cndmask_b32_e64 v11, 0x7c00, v11, s1
	v_cmp_eq_u32_e64 s1, 0x40f, v19
	v_cndmask_b32_e64 v31, 0, 1, vcc_lo
	v_cmp_lt_i32_e32 vcc_lo, 5, v30
	v_lshl_or_b32 v30, v31, 9, 0x7c00
	s_or_b32 vcc_lo, s0, vcc_lo
	v_add_co_ci_u32_e32 v19, vcc_lo, 0, v20, vcc_lo
	v_cmp_ne_u32_e32 vcc_lo, 0, v39
	v_cndmask_b32_e64 v11, v11, v30, s1
	v_cmp_gt_i32_e64 s1, 1, v16
	s_waitcnt vmcnt(0)
	v_mul_f16_sdwa v36, v14, v34 dst_sel:DWORD dst_unused:UNUSED_PAD src0_sel:WORD_1 src1_sel:DWORD
	v_mov_b32_e32 v40, v14
	v_fmac_f16_e32 v36, v14, v10
	v_mul_f16_sdwa v10, v40, v10 dst_sel:DWORD dst_unused:UNUSED_PAD src0_sel:WORD_1 src1_sel:DWORD
	v_cvt_f32_f16_e32 v14, v35
	v_bfe_u32 v35, v12, 20, 11
	v_lshrrev_b32_e32 v12, 16, v12
	v_cvt_f32_f16_e32 v31, v36
	v_fma_f16 v10, v40, v34, -v10
	buffer_load_dword v40, off, s[20:23], 0 offset:72 ; 4-byte Folded Reload
	v_cvt_f64_f32_e32 v[14:15], v14
	v_cndmask_b32_e64 v36, 0, 1, vcc_lo
	v_cmp_gt_i32_e32 vcc_lo, 31, v33
	v_cvt_f64_f32_e32 v[30:31], v31
	v_sub_nc_u32_e32 v37, 0x3f1, v35
	v_cndmask_b32_e32 v38, 0x7c00, v19, vcc_lo
	v_cmp_eq_u32_e32 vcc_lo, 0x40f, v33
	v_mul_f64 v[19:20], v[14:15], s[12:13]
	v_lshl_or_b32 v14, v36, 9, 0x7c00
	v_lshrrev_b32_e32 v15, 16, v18
	v_lshrrev_b32_e32 v18, 16, v27
	v_med3_i32 v36, v37, 0, 13
	v_or_b32_e32 v37, 0x1000, v5
	v_cndmask_b32_e32 v14, v38, v14, vcc_lo
	v_and_or_b32 v11, 0x8000, v15, v11
	v_add_co_u32 v27, vcc_lo, v28, s10
	v_add_co_ci_u32_e32 v28, vcc_lo, s7, v29, vcc_lo
	v_and_or_b32 v18, 0x8000, v18, v14
	v_and_b32_e32 v11, 0xffff, v11
	v_mul_f64 v[14:15], v[30:31], s[12:13]
	v_add_co_u32 v29, vcc_lo, v27, s10
	v_add_co_ci_u32_e32 v30, vcc_lo, s7, v28, vcc_lo
	v_lshl_or_b32 v33, v18, 16, v11
	v_cvt_f32_f16_e32 v18, v10
	v_lshrrev_b32_e32 v32, v36, v37
	v_and_or_b32 v11, 0x1ff, v20, v19
	v_bfe_u32 v38, v20, 20, 11
	global_store_dword v[27:28], v33, off
	buffer_load_dword v33, off, s[20:23], 0 offset:68 ; 4-byte Folded Reload
	v_cvt_f64_f32_e32 v[18:19], v18
	v_cmp_ne_u32_e32 vcc_lo, 0, v11
	ds_read2_b32 v[10:11], v186 offset0:114 offset1:163
	v_lshlrev_b32_e32 v31, v36, v32
	v_lshrrev_b32_e32 v36, 8, v20
	v_lshrrev_b32_e32 v20, 16, v20
	v_cndmask_b32_e64 v34, 0, 1, vcc_lo
	v_cmp_ne_u32_e32 vcc_lo, v26, v25
	v_and_or_b32 v14, 0x1ff, v15, v14
	v_and_or_b32 v26, 0xffe, v36, v34
	v_cndmask_b32_e64 v25, 0, 1, vcc_lo
	v_lshrrev_b32_e32 v36, 8, v15
	v_sub_nc_u32_e32 v34, 0x3f1, v38
	v_cmp_ne_u32_e32 vcc_lo, 0, v14
	v_or_b32_e32 v24, v24, v25
	v_lshl_or_b32 v25, v7, 12, v1
	v_cndmask_b32_e64 v14, 0, 1, vcc_lo
	v_cmp_gt_i32_e32 vcc_lo, 1, v7
	s_waitcnt lgkmcnt(0)
	v_lshrrev_b32_e32 v39, 16, v10
	v_mul_f64 v[18:19], v[18:19], s[12:13]
	v_and_or_b32 v36, 0xffe, v36, v14
	v_cndmask_b32_e32 v24, v25, v24, vcc_lo
	v_cmp_ne_u32_e32 vcc_lo, v23, v22
	v_med3_i32 v25, v34, 0, 13
	v_or_b32_e32 v34, 0x1000, v26
	v_or_b32_e32 v42, 0x1000, v36
	v_and_b32_e32 v14, 7, v24
	v_cndmask_b32_e64 v22, 0, 1, vcc_lo
	v_cmp_lt_i32_e32 vcc_lo, 5, v14
	v_cmp_eq_u32_e64 s0, 3, v14
	v_lshrrev_b32_e32 v14, 2, v24
	v_or_b32_e32 v21, v21, v22
	v_lshl_or_b32 v22, v16, 12, v3
	s_or_b32 vcc_lo, s0, vcc_lo
	v_add_co_ci_u32_e32 v14, vcc_lo, 0, v14, vcc_lo
	v_cndmask_b32_e64 v24, v22, v21, s1
	v_cmp_ne_u32_e32 vcc_lo, 0, v1
	v_cmp_eq_u32_e64 s1, 0x40f, v7
	v_bfe_u32 v41, v19, 20, 11
	v_cndmask_b32_e64 v1, 0, 1, vcc_lo
	v_cmp_gt_i32_e32 vcc_lo, 31, v7
	v_lshrrev_b32_e32 v7, 2, v24
	v_lshl_or_b32 v1, v1, 9, 0x7c00
	v_cndmask_b32_e32 v14, 0x7c00, v14, vcc_lo
	v_cndmask_b32_e64 v1, v14, v1, s1
	v_and_or_b32 v14, 0x1ff, v19, v18
	s_waitcnt vmcnt(1)
	v_mul_f16_sdwa v23, v40, v39 dst_sel:DWORD dst_unused:UNUSED_PAD src0_sel:WORD_1 src1_sel:DWORD
	v_mov_b32_e32 v45, v40
	v_fmac_f16_e32 v23, v40, v10
	v_bfe_u32 v40, v15, 20, 11
	v_mul_f16_sdwa v10, v45, v10 dst_sel:DWORD dst_unused:UNUSED_PAD src0_sel:WORD_1 src1_sel:DWORD
	v_lshrrev_b32_e32 v15, 16, v15
	v_cvt_f32_f16_e32 v21, v23
	v_and_b32_e32 v23, 7, v24
	v_lshrrev_b32_e32 v24, 16, v13
	v_fma_f16 v10, v45, v39, -v10
	v_cvt_f64_f32_e32 v[21:22], v21
	v_cmp_lt_i32_e32 vcc_lo, 5, v23
	v_cmp_eq_u32_e64 s0, 3, v23
	v_and_or_b32 v1, 0x8000, v24, v1
	v_lshrrev_b32_e32 v23, v25, v34
	v_cvt_f32_f16_e32 v10, v10
	s_or_b32 vcc_lo, s0, vcc_lo
	v_and_b32_e32 v1, 0xffff, v1
	v_add_co_ci_u32_e32 v7, vcc_lo, 0, v7, vcc_lo
	v_cmp_ne_u32_e32 vcc_lo, 0, v3
	v_cndmask_b32_e64 v3, 0, 1, vcc_lo
	v_cmp_ne_u32_e32 vcc_lo, 0, v14
	v_lshl_or_b32 v3, v3, 9, 0x7c00
	v_cndmask_b32_e64 v18, 0, 1, vcc_lo
	v_cmp_gt_i32_e32 vcc_lo, 31, v16
	v_mul_f64 v[13:14], v[21:22], s[12:13]
	v_lshrrev_b32_e32 v21, 8, v19
	v_lshrrev_b32_e32 v19, 16, v19
	v_cndmask_b32_e32 v7, 0x7c00, v7, vcc_lo
	v_cmp_eq_u32_e32 vcc_lo, 0x40f, v16
	v_sub_nc_u32_e32 v16, 0x3f1, v40
	v_and_or_b32 v18, 0xffe, v21, v18
	v_cndmask_b32_e32 v3, v7, v3, vcc_lo
	v_lshrrev_b32_e32 v7, 16, v17
	v_sub_nc_u32_e32 v17, 0x3f1, v41
	v_or_b32_e32 v44, 0x1000, v18
	v_and_or_b32 v3, 0x8000, v7, v3
	v_med3_i32 v7, v16, 0, 13
	v_add_co_u32 v16, vcc_lo, v29, s8
	v_med3_i32 v43, v17, 0, 13
	v_lshl_or_b32 v1, v3, 16, v1
	v_add_co_ci_u32_e32 v17, vcc_lo, s9, v30, vcc_lo
	v_lshlrev_b32_e32 v3, v25, v23
	v_lshrrev_b32_e32 v25, v7, v42
	global_store_dword v[29:30], v1, off
	v_and_or_b32 v1, 0x1ff, v14, v13
	v_add_nc_u32_e32 v29, 0xfffffc10, v35
	v_lshrrev_b32_e32 v30, 16, v6
	v_lshrrev_b32_e32 v27, v43, v44
	;; [unrolled: 1-line block ×3, first 2 shown]
	v_cmp_ne_u32_e32 vcc_lo, 0, v1
	v_lshl_or_b32 v22, v29, 12, v5
	s_waitcnt vmcnt(0)
	v_mul_f16_sdwa v24, v33, v30 dst_sel:DWORD dst_unused:UNUSED_PAD src0_sel:WORD_1 src1_sel:DWORD
	v_lshlrev_b32_e32 v35, v43, v27
	v_bfe_u32 v28, v14, 20, 11
	v_cndmask_b32_e64 v1, 0, 1, vcc_lo
	v_cmp_ne_u32_e32 vcc_lo, v31, v37
	v_add_nc_u32_e32 v31, 0xfffffc10, v38
	v_fmac_f16_e32 v24, v33, v6
	v_mov_b32_e32 v38, v33
	v_and_or_b32 v1, 0xffe, v13, v1
	v_cndmask_b32_e64 v21, 0, 1, vcc_lo
	v_cmp_ne_u32_e32 vcc_lo, v3, v34
	v_lshlrev_b32_e32 v34, v7, v25
	v_mul_f16_sdwa v6, v38, v6 dst_sel:DWORD dst_unused:UNUSED_PAD src0_sel:WORD_1 src1_sel:DWORD
	v_sub_nc_u32_e32 v13, 0x3f1, v28
	v_or_b32_e32 v21, v32, v21
	v_cndmask_b32_e64 v3, 0, 1, vcc_lo
	v_cmp_gt_i32_e32 vcc_lo, 1, v29
	v_fma_f16 v30, v38, v30, -v6
	v_med3_i32 v13, v13, 0, 13
	v_or_b32_e32 v3, v23, v3
	v_cndmask_b32_e32 v32, v22, v21, vcc_lo
	v_cvt_f64_f32_e32 v[21:22], v10
	v_lshl_or_b32 v10, v31, 12, v26
	v_cmp_gt_i32_e32 vcc_lo, 1, v31
	v_cvt_f32_f16_e32 v23, v24
	v_and_b32_e32 v33, 7, v32
	v_lshrrev_b32_e32 v32, 2, v32
	v_cvt_f32_f16_e32 v30, v30
	v_cndmask_b32_e32 v3, v10, v3, vcc_lo
	v_cvt_f64_f32_e32 v[23:24], v23
	v_cmp_lt_i32_e32 vcc_lo, 5, v33
	v_cmp_eq_u32_e64 s0, 3, v33
	v_or_b32_e32 v10, 0x1000, v1
	v_and_b32_e32 v33, 7, v3
	v_lshrrev_b32_e32 v3, 2, v3
	s_or_b32 vcc_lo, s0, vcc_lo
	v_lshrrev_b32_e32 v37, v13, v10
	v_add_co_ci_u32_e32 v32, vcc_lo, 0, v32, vcc_lo
	v_cmp_lt_i32_e64 s1, 5, v33
	v_cmp_eq_u32_e64 s2, 3, v33
	v_cmp_ne_u32_e32 vcc_lo, 0, v5
	v_mul_f64 v[6:7], v[21:22], s[12:13]
	v_add_nc_u32_e32 v33, 0xfffffc10, v40
	v_lshlrev_b32_e32 v13, v13, v37
	v_cndmask_b32_e64 v5, 0, 1, vcc_lo
	s_or_b32 vcc_lo, s2, s1
	v_cmp_eq_u32_e64 s1, 0x40f, v33
	v_add_co_ci_u32_e32 v3, vcc_lo, 0, v3, vcc_lo
	v_cmp_ne_u32_e32 vcc_lo, 0, v26
	v_mul_f64 v[21:22], v[23:24], s[12:13]
	v_cvt_f64_f32_e32 v[23:24], v30
	v_lshl_or_b32 v5, v5, 9, 0x7c00
	v_cndmask_b32_e64 v26, 0, 1, vcc_lo
	v_cmp_gt_i32_e32 vcc_lo, 31, v29
	v_lshl_or_b32 v26, v26, 9, 0x7c00
	v_cndmask_b32_e32 v30, 0x7c00, v32, vcc_lo
	v_cmp_gt_i32_e32 vcc_lo, 31, v31
	v_and_or_b32 v6, 0x1ff, v7, v6
	v_cndmask_b32_e32 v3, 0x7c00, v3, vcc_lo
	v_cmp_eq_u32_e32 vcc_lo, 0x40f, v29
	v_cndmask_b32_e32 v5, v30, v5, vcc_lo
	v_cmp_eq_u32_e32 vcc_lo, 0x40f, v31
	v_and_or_b32 v21, 0x1ff, v22, v21
	v_and_or_b32 v5, 0x8000, v12, v5
	v_cndmask_b32_e32 v3, v3, v26, vcc_lo
	v_cmp_ne_u32_e32 vcc_lo, 0, v6
	v_lshrrev_b32_e32 v12, 8, v7
	v_and_b32_e32 v26, 0xffff, v5
	v_and_or_b32 v3, 0x8000, v20, v3
	v_cndmask_b32_e64 v6, 0, 1, vcc_lo
	v_bfe_u32 v20, v7, 20, 11
	v_cmp_ne_u32_e32 vcc_lo, 0, v21
	v_lshrrev_b32_e32 v7, 16, v7
	v_lshl_or_b32 v3, v3, 16, v26
	v_and_or_b32 v29, 0xffe, v12, v6
	v_mul_f64 v[5:6], v[23:24], s[12:13]
	v_sub_nc_u32_e32 v12, 0x3f1, v20
	v_cndmask_b32_e64 v21, 0, 1, vcc_lo
	global_store_dword v[16:17], v3, off
	v_or_b32_e32 v26, 0x1000, v29
	v_add_co_u32 v16, vcc_lo, v16, s10
	v_med3_i32 v12, v12, 0, 13
	v_add_co_ci_u32_e32 v17, vcc_lo, s7, v17, vcc_lo
	v_cmp_ne_u32_e32 vcc_lo, v34, v42
	v_add_nc_u32_e32 v20, 0xfffffc10, v20
	v_lshrrev_b32_e32 v3, v12, v26
	v_bfe_u32 v23, v22, 20, 11
	v_lshrrev_b32_e32 v24, 8, v22
	v_lshlrev_b32_e32 v31, v12, v3
	v_cndmask_b32_e64 v12, 0, 1, vcc_lo
	v_sub_nc_u32_e32 v30, 0x3f1, v23
	v_and_or_b32 v21, 0xffe, v24, v21
	v_add_nc_u32_e32 v23, 0xfffffc10, v23
	v_and_or_b32 v5, 0x1ff, v6, v5
	v_or_b32_e32 v12, v25, v12
	v_lshl_or_b32 v25, v33, 12, v36
	v_med3_i32 v24, v30, 0, 13
	v_or_b32_e32 v30, 0x1000, v21
	v_cmp_ne_u32_e32 vcc_lo, 0, v5
	v_bfe_u32 v38, v6, 20, 11
	v_lshrrev_b32_e32 v32, v24, v30
	v_cndmask_b32_e64 v5, 0, 1, vcc_lo
	v_cmp_ne_u32_e32 vcc_lo, v35, v44
	v_add_nc_u32_e32 v35, 0xfffffc10, v41
	v_lshlrev_b32_e32 v24, v24, v32
	v_cndmask_b32_e64 v34, 0, 1, vcc_lo
	v_cmp_gt_i32_e32 vcc_lo, 1, v33
	v_or_b32_e32 v27, v27, v34
	v_cndmask_b32_e32 v12, v25, v12, vcc_lo
	v_lshl_or_b32 v34, v35, 12, v18
	v_cmp_gt_i32_e32 vcc_lo, 1, v35
	v_lshrrev_b32_e32 v25, 8, v6
	v_lshrrev_b32_e32 v6, 16, v6
	v_and_b32_e32 v39, 7, v12
	v_lshrrev_b32_e32 v12, 2, v12
	v_cndmask_b32_e32 v27, v34, v27, vcc_lo
	v_and_or_b32 v5, 0xffe, v25, v5
	v_sub_nc_u32_e32 v25, 0x3f1, v38
	v_cmp_lt_i32_e32 vcc_lo, 5, v39
	v_cmp_eq_u32_e64 s0, 3, v39
	v_and_b32_e32 v39, 7, v27
	v_lshrrev_b32_e32 v27, 2, v27
	v_med3_i32 v25, v25, 0, 13
	v_or_b32_e32 v34, 0x1000, v5
	s_or_b32 vcc_lo, s0, vcc_lo
	v_cmp_gt_i32_e64 s0, 31, v33
	v_add_co_ci_u32_e32 v12, vcc_lo, 0, v12, vcc_lo
	v_cmp_ne_u32_e32 vcc_lo, 0, v36
	v_lshrrev_b32_e32 v40, v25, v34
	v_cndmask_b32_e64 v12, 0x7c00, v12, s0
	v_cmp_eq_u32_e64 s0, 3, v39
	v_cndmask_b32_e64 v36, 0, 1, vcc_lo
	v_cmp_lt_i32_e32 vcc_lo, 5, v39
	v_lshlrev_b32_e32 v25, v25, v40
	v_lshl_or_b32 v36, v36, 9, 0x7c00
	s_or_b32 vcc_lo, s0, vcc_lo
	v_cndmask_b32_e64 v33, v12, v36, s1
	v_add_co_ci_u32_e32 v12, vcc_lo, 0, v27, vcc_lo
	v_cmp_ne_u32_e32 vcc_lo, 0, v18
	v_add_nc_u32_e32 v27, 0xfffffc10, v28
	v_cmp_gt_i32_e64 s1, 1, v20
	v_and_or_b32 v15, 0x8000, v15, v33
	v_cndmask_b32_e64 v18, 0, 1, vcc_lo
	v_cmp_ne_u32_e32 vcc_lo, v13, v10
	v_lshl_or_b32 v13, v18, 9, 0x7c00
	v_cndmask_b32_e64 v10, 0, 1, vcc_lo
	v_cmp_gt_i32_e32 vcc_lo, 31, v35
	v_lshl_or_b32 v18, v27, 12, v1
	v_or_b32_e32 v10, v37, v10
	v_cndmask_b32_e32 v12, 0x7c00, v12, vcc_lo
	v_cmp_eq_u32_e32 vcc_lo, 0x40f, v35
	v_cndmask_b32_e32 v28, v12, v13, vcc_lo
	v_cmp_gt_i32_e32 vcc_lo, 1, v27
	ds_read2_b32 v[12:13], v192 offset0:32 offset1:81
	v_and_or_b32 v19, 0x8000, v19, v28
	v_cndmask_b32_e32 v10, v18, v10, vcc_lo
	v_cmp_ne_u32_e32 vcc_lo, v31, v26
	buffer_load_dword v31, off, s[20:23], 0 offset:64 ; 4-byte Folded Reload
	v_and_b32_e32 v26, 7, v10
	v_cndmask_b32_e64 v18, 0, 1, vcc_lo
	v_lshrrev_b32_e32 v10, 2, v10
	v_cmp_lt_i32_e32 vcc_lo, 5, v26
	v_cmp_eq_u32_e64 s0, 3, v26
	v_or_b32_e32 v3, v3, v18
	v_lshl_or_b32 v18, v20, 12, v29
	v_and_b32_e32 v26, 0xffff, v15
	s_or_b32 vcc_lo, s0, vcc_lo
	v_add_co_ci_u32_e32 v10, vcc_lo, 0, v10, vcc_lo
	v_cndmask_b32_e64 v3, v18, v3, s1
	v_cmp_ne_u32_e32 vcc_lo, 0, v1
	s_waitcnt lgkmcnt(0)
	v_lshrrev_b32_e32 v18, 16, v12
	v_cmp_eq_u32_e64 s1, 0x40f, v27
	v_lshl_or_b32 v26, v19, 16, v26
	v_and_b32_e32 v15, 7, v3
	v_cndmask_b32_e64 v1, 0, 1, vcc_lo
	v_cmp_gt_i32_e32 vcc_lo, 31, v27
	v_lshrrev_b32_e32 v3, 2, v3
	global_store_dword v[16:17], v26, off
	v_cmp_eq_u32_e64 s0, 3, v15
	v_lshl_or_b32 v1, v1, 9, 0x7c00
	v_cndmask_b32_e32 v10, 0x7c00, v10, vcc_lo
	v_cmp_lt_i32_e32 vcc_lo, 5, v15
	v_cndmask_b32_e64 v1, v10, v1, s1
	s_or_b32 vcc_lo, s0, vcc_lo
	v_cmp_ne_u32_e64 s1, v24, v30
	v_add_co_ci_u32_e32 v3, vcc_lo, 0, v3, vcc_lo
	v_cmp_ne_u32_e32 vcc_lo, 0, v29
	v_lshrrev_b32_e32 v10, 16, v14
	v_cndmask_b32_e64 v24, 0, 1, s1
	v_cmp_ne_u32_e64 s1, v25, v34
	v_cndmask_b32_e64 v27, 0, 1, vcc_lo
	v_cmp_gt_i32_e32 vcc_lo, 31, v20
	v_or_b32_e32 v24, v32, v24
	v_and_or_b32 v1, 0x8000, v10, v1
	v_cndmask_b32_e64 v10, 0, 1, s1
	v_lshl_or_b32 v27, v27, 9, 0x7c00
	v_cndmask_b32_e32 v3, 0x7c00, v3, vcc_lo
	v_cmp_gt_i32_e32 vcc_lo, 1, v23
	v_and_b32_e32 v1, 0xffff, v1
	v_or_b32_e32 v10, v40, v10
	s_waitcnt vmcnt(0)
	v_mul_f16_sdwa v28, v31, v18 dst_sel:DWORD dst_unused:UNUSED_PAD src0_sel:WORD_1 src1_sel:DWORD
	v_fmac_f16_e32 v28, v31, v12
	v_mul_f16_sdwa v12, v31, v12 dst_sel:DWORD dst_unused:UNUSED_PAD src0_sel:WORD_1 src1_sel:DWORD
	v_cvt_f32_f16_e32 v14, v28
	v_lshl_or_b32 v28, v23, 12, v21
	v_fma_f16 v12, v31, v18, -v12
	v_cvt_f64_f32_e32 v[14:15], v14
	v_cndmask_b32_e32 v24, v28, v24, vcc_lo
	v_cmp_eq_u32_e32 vcc_lo, 0x40f, v20
	v_and_b32_e32 v20, 7, v24
	v_cndmask_b32_e32 v3, v3, v27, vcc_lo
	v_cmp_lt_i32_e32 vcc_lo, 5, v20
	v_cmp_eq_u32_e64 s0, 3, v20
	v_and_or_b32 v3, 0x8000, v7, v3
	v_cvt_f32_f16_e32 v7, v12
	v_lshrrev_b32_e32 v12, 2, v24
	s_or_b32 vcc_lo, s0, vcc_lo
	v_lshl_or_b32 v1, v3, 16, v1
	v_cvt_f64_f32_e32 v[18:19], v7
	v_add_co_ci_u32_e32 v12, vcc_lo, 0, v12, vcc_lo
	v_cmp_ne_u32_e32 vcc_lo, 0, v21
	v_add_nc_u32_e32 v7, 0xfffffc10, v38
	v_mul_f64 v[14:15], v[14:15], s[12:13]
	v_cndmask_b32_e64 v20, 0, 1, vcc_lo
	v_cmp_gt_i32_e32 vcc_lo, 31, v23
	v_lshl_or_b32 v21, v7, 12, v5
	v_lshl_or_b32 v20, v20, 9, 0x7c00
	v_cndmask_b32_e32 v12, 0x7c00, v12, vcc_lo
	v_cmp_gt_i32_e32 vcc_lo, 1, v7
	v_cndmask_b32_e32 v10, v21, v10, vcc_lo
	buffer_load_dword v21, off, s[20:23], 0 offset:60 ; 4-byte Folded Reload
	v_cmp_eq_u32_e32 vcc_lo, 0x40f, v23
	v_lshrrev_b32_e32 v23, 16, v9
	v_mul_f64 v[18:19], v[18:19], s[12:13]
	v_and_or_b32 v14, 0x1ff, v15, v14
	v_cndmask_b32_e32 v3, v12, v20, vcc_lo
	v_lshrrev_b32_e32 v12, 16, v22
	v_and_b32_e32 v20, 7, v10
	v_add_co_u32 v16, vcc_lo, v16, s10
	v_cmp_ne_u32_e64 s0, 0, v14
	v_add_co_ci_u32_e32 v17, vcc_lo, s7, v17, vcc_lo
	v_and_or_b32 v3, 0x8000, v12, v3
	v_cmp_lt_i32_e32 vcc_lo, 5, v20
	v_cndmask_b32_e64 v12, 0, 1, s0
	v_cmp_eq_u32_e64 s0, 3, v20
	v_lshrrev_b32_e32 v10, 2, v10
	v_lshrrev_b32_e32 v14, 8, v15
	v_bfe_u32 v22, v15, 20, 11
	v_and_b32_e32 v3, 0xffff, v3
	s_or_b32 vcc_lo, s0, vcc_lo
	global_store_dword v[16:17], v1, off
	v_add_co_ci_u32_e32 v10, vcc_lo, 0, v10, vcc_lo
	v_and_or_b32 v12, 0xffe, v14, v12
	v_sub_nc_u32_e32 v14, 0x3f1, v22
	v_cmp_ne_u32_e32 vcc_lo, 0, v5
	v_and_or_b32 v18, 0x1ff, v19, v18
	v_lshrrev_b32_e32 v26, 8, v19
	v_or_b32_e32 v24, 0x1000, v12
	v_med3_i32 v14, v14, 0, 13
	v_cndmask_b32_e64 v5, 0, 1, vcc_lo
	v_cmp_gt_i32_e32 vcc_lo, 31, v7
	v_bfe_u32 v27, v19, 20, 11
	v_lshrrev_b32_e32 v25, v14, v24
	v_lshl_or_b32 v5, v5, 9, 0x7c00
	v_cndmask_b32_e32 v10, 0x7c00, v10, vcc_lo
	v_cmp_ne_u32_e32 vcc_lo, 0, v18
	v_lshlrev_b32_e32 v14, v14, v25
	v_cndmask_b32_e64 v18, 0, 1, vcc_lo
	v_cmp_eq_u32_e32 vcc_lo, 0x40f, v7
	v_sub_nc_u32_e32 v7, 0x3f1, v27
	v_and_or_b32 v18, 0xffe, v26, v18
	v_cndmask_b32_e32 v5, v10, v5, vcc_lo
	v_cmp_ne_u32_e32 vcc_lo, v14, v24
	v_add_nc_u32_e32 v14, 0xfffffc10, v22
	v_med3_i32 v7, v7, 0, 13
	v_or_b32_e32 v22, 0x1000, v18
	v_and_or_b32 v5, 0x8000, v6, v5
	v_cndmask_b32_e64 v10, 0, 1, vcc_lo
	v_cmp_gt_i32_e32 vcc_lo, 1, v14
	v_cmp_eq_u32_e64 s1, 0x40f, v14
	v_lshrrev_b32_e32 v6, v7, v22
	v_lshl_or_b32 v1, v5, 16, v3
	v_or_b32_e32 v24, v25, v10
	v_lshl_or_b32 v25, v14, 12, v12
	v_lshlrev_b32_e32 v7, v7, v6
	s_waitcnt vmcnt(0)
	v_mul_f16_sdwa v20, v21, v23 dst_sel:DWORD dst_unused:UNUSED_PAD src0_sel:WORD_1 src1_sel:DWORD
	v_mov_b32_e32 v28, v21
	v_fmac_f16_e32 v20, v21, v9
	v_mul_f16_sdwa v9, v28, v9 dst_sel:DWORD dst_unused:UNUSED_PAD src0_sel:WORD_1 src1_sel:DWORD
	v_cvt_f32_f16_e32 v20, v20
	v_fma_f16 v23, v28, v23, -v9
	buffer_load_dword v28, off, s[20:23], 0 offset:56 ; 4-byte Folded Reload
	v_cvt_f64_f32_e32 v[20:21], v20
	v_mul_f64 v[9:10], v[20:21], s[12:13]
	v_cvt_f32_f16_e32 v20, v23
	v_cndmask_b32_e32 v23, v25, v24, vcc_lo
	v_add_co_u32 v16, vcc_lo, v16, s10
	v_add_co_ci_u32_e32 v17, vcc_lo, s7, v17, vcc_lo
	v_cvt_f64_f32_e32 v[20:21], v20
	v_and_b32_e32 v3, 7, v23
	v_cmp_ne_u32_e32 vcc_lo, v7, v22
	v_add_nc_u32_e32 v22, 0xfffffc10, v27
	v_lshrrev_b32_e32 v27, 16, v15
	global_store_dword v[16:17], v1, off
	v_cmp_eq_u32_e64 s0, 3, v3
	v_cndmask_b32_e64 v5, 0, 1, vcc_lo
	v_cmp_lt_i32_e32 vcc_lo, 5, v3
	v_lshrrev_b32_e32 v3, 2, v23
	v_lshl_or_b32 v23, v22, 12, v18
	v_or_b32_e32 v5, v6, v5
	s_or_b32 vcc_lo, s0, vcc_lo
	ds_read2_b32 v[6:7], v182 offset0:206 offset1:255
	v_add_co_ci_u32_e32 v3, vcc_lo, 0, v3, vcc_lo
	v_cmp_ne_u32_e32 vcc_lo, 0, v12
	v_and_or_b32 v9, 0x1ff, v10, v9
	v_bfe_u32 v24, v10, 20, 11
	v_cndmask_b32_e64 v12, 0, 1, vcc_lo
	v_cmp_gt_i32_e32 vcc_lo, 1, v22
	v_mul_f64 v[20:21], v[20:21], s[12:13]
	v_lshl_or_b32 v12, v12, 9, 0x7c00
	v_cndmask_b32_e32 v5, v23, v5, vcc_lo
	v_cmp_ne_u32_e32 vcc_lo, 0, v9
	v_lshrrev_b32_e32 v23, 8, v10
	v_and_b32_e32 v25, 7, v5
	v_cndmask_b32_e64 v9, 0, 1, vcc_lo
	v_cmp_gt_i32_e32 vcc_lo, 31, v14
	v_lshrrev_b32_e32 v5, 2, v5
	v_cmp_eq_u32_e64 s0, 3, v25
	v_and_or_b32 v9, 0xffe, v23, v9
	v_cndmask_b32_e32 v3, 0x7c00, v3, vcc_lo
	v_cmp_lt_i32_e32 vcc_lo, 5, v25
	s_waitcnt lgkmcnt(0)
	v_lshrrev_b32_e32 v25, 16, v6
	v_sub_nc_u32_e32 v23, 0x3f1, v24
	v_or_b32_e32 v26, 0x1000, v9
	v_cndmask_b32_e64 v3, v3, v12, s1
	s_or_b32 vcc_lo, s0, vcc_lo
	v_and_or_b32 v15, 0x1ff, v21, v20
	v_add_co_ci_u32_e32 v20, vcc_lo, 0, v5, vcc_lo
	v_med3_i32 v23, v23, 0, 13
	v_cmp_ne_u32_e32 vcc_lo, 0, v18
	v_bfe_u32 v29, v21, 20, 11
	v_add_nc_u32_e32 v24, 0xfffffc10, v24
	v_and_or_b32 v1, 0x8000, v27, v3
	v_lshrrev_b32_e32 v14, v23, v26
	v_and_b32_e32 v1, 0xffff, v1
	v_lshlrev_b32_e32 v23, v23, v14
	s_waitcnt vmcnt(0)
	v_mul_f16_sdwa v12, v28, v25 dst_sel:DWORD dst_unused:UNUSED_PAD src0_sel:WORD_1 src1_sel:DWORD
	v_mov_b32_e32 v30, v28
	v_fmac_f16_e32 v12, v28, v6
	v_lshrrev_b32_e32 v28, 8, v21
	v_mul_f16_sdwa v18, v30, v6 dst_sel:DWORD dst_unused:UNUSED_PAD src0_sel:WORD_1 src1_sel:DWORD
	v_cvt_f32_f16_e32 v5, v12
	v_cndmask_b32_e64 v12, 0, 1, vcc_lo
	v_cmp_ne_u32_e32 vcc_lo, 0, v15
	v_fma_f16 v18, v30, v25, -v18
	v_cvt_f64_f32_e32 v[5:6], v5
	v_lshl_or_b32 v12, v12, 9, 0x7c00
	v_cndmask_b32_e64 v15, 0, 1, vcc_lo
	v_cmp_ne_u32_e32 vcc_lo, v23, v26
	v_and_or_b32 v26, 0xffe, v28, v15
	v_sub_nc_u32_e32 v15, 0x3f1, v29
	v_cndmask_b32_e64 v23, 0, 1, vcc_lo
	v_cmp_gt_i32_e32 vcc_lo, 31, v22
	v_or_b32_e32 v25, 0x1000, v26
	v_med3_i32 v15, v15, 0, 13
	v_or_b32_e32 v14, v14, v23
	v_lshl_or_b32 v23, v24, 12, v9
	v_cndmask_b32_e32 v20, 0x7c00, v20, vcc_lo
	v_cmp_gt_i32_e32 vcc_lo, 1, v24
	v_lshrrev_b32_e32 v28, v15, v25
	v_cndmask_b32_e32 v23, v23, v14, vcc_lo
	v_cmp_eq_u32_e32 vcc_lo, 0x40f, v22
	v_cvt_f32_f16_e32 v14, v18
	v_lshrrev_b32_e32 v18, 16, v19
	v_lshlrev_b32_e32 v19, v15, v28
	v_mul_f64 v[5:6], v[5:6], s[12:13]
	v_cndmask_b32_e32 v12, v20, v12, vcc_lo
	v_and_b32_e32 v20, 7, v23
	v_cvt_f64_f32_e32 v[14:15], v14
	v_cmp_ne_u32_e64 s0, v19, v25
	v_add_nc_u32_e32 v22, 0xfffffc10, v29
	v_and_or_b32 v3, 0x8000, v18, v12
	v_cmp_lt_i32_e32 vcc_lo, 5, v20
	v_lshrrev_b32_e32 v18, 2, v23
	v_cndmask_b32_e64 v12, 0, 1, s0
	v_cmp_eq_u32_e64 s0, 3, v20
	v_lshl_or_b32 v19, v22, 12, v26
	v_lshl_or_b32 v1, v3, 16, v1
	v_lshrrev_b32_e32 v20, 16, v8
	v_or_b32_e32 v12, v28, v12
	buffer_load_dword v28, off, s[20:23], 0 offset:52 ; 4-byte Folded Reload
	s_or_b32 vcc_lo, s0, vcc_lo
	v_add_co_ci_u32_e32 v18, vcc_lo, 0, v18, vcc_lo
	v_cmp_ne_u32_e32 vcc_lo, 0, v9
	v_and_or_b32 v5, 0x1ff, v6, v5
	v_cndmask_b32_e64 v9, 0, 1, vcc_lo
	v_cmp_gt_i32_e32 vcc_lo, 1, v22
	v_mul_f64 v[14:15], v[14:15], s[12:13]
	v_lshl_or_b32 v9, v9, 9, 0x7c00
	v_cndmask_b32_e32 v12, v19, v12, vcc_lo
	v_cmp_ne_u32_e32 vcc_lo, 0, v5
	v_lshrrev_b32_e32 v5, 8, v6
	v_bfe_u32 v19, v6, 20, 11
	v_lshrrev_b32_e32 v6, 16, v6
	v_and_b32_e32 v25, 7, v12
	v_cndmask_b32_e64 v3, 0, 1, vcc_lo
	v_cmp_gt_i32_e32 vcc_lo, 31, v24
	v_lshrrev_b32_e32 v12, 2, v12
	v_cmp_eq_u32_e64 s0, 3, v25
	v_and_or_b32 v3, 0xffe, v5, v3
	v_cndmask_b32_e32 v18, 0x7c00, v18, vcc_lo
	v_add_co_u32 v16, vcc_lo, v16, s10
	v_sub_nc_u32_e32 v5, 0x3f1, v19
	v_add_co_ci_u32_e32 v17, vcc_lo, s7, v17, vcc_lo
	v_cmp_eq_u32_e32 vcc_lo, 0x40f, v24
	v_or_b32_e32 v27, 0x1000, v3
	v_med3_i32 v5, v5, 0, 13
	v_and_or_b32 v14, 0x1ff, v15, v14
	global_store_dword v[16:17], v1, off
	v_cndmask_b32_e32 v24, v18, v9, vcc_lo
	v_cmp_lt_i32_e32 vcc_lo, 5, v25
	v_lshrrev_b32_e32 v18, v5, v27
	v_lshrrev_b32_e32 v25, 8, v15
	s_or_b32 vcc_lo, s0, vcc_lo
	v_lshlrev_b32_e32 v5, v5, v18
	v_add_co_ci_u32_e32 v12, vcc_lo, 0, v12, vcc_lo
	v_cmp_ne_u32_e32 vcc_lo, 0, v14
	v_cndmask_b32_e64 v14, 0, 1, vcc_lo
	v_cmp_ne_u32_e32 vcc_lo, v5, v27
	v_bfe_u32 v27, v15, 20, 11
	v_and_or_b32 v14, 0xffe, v25, v14
	v_cndmask_b32_e64 v5, 0, 1, vcc_lo
	v_sub_nc_u32_e32 v25, 0x3f1, v27
	v_add_nc_u32_e32 v1, 0xfffffc10, v27
	buffer_load_dword v27, off, s[20:23], 0 offset:48 ; 4-byte Folded Reload
	v_cmp_ne_u32_e32 vcc_lo, 0, v26
	v_or_b32_e32 v5, v18, v5
	v_or_b32_e32 v26, 0x1000, v14
	v_med3_i32 v25, v25, 0, 13
	s_waitcnt vmcnt(1)
	v_mul_f16_sdwa v23, v28, v20 dst_sel:DWORD dst_unused:UNUSED_PAD src0_sel:WORD_1 src1_sel:DWORD
	v_mov_b32_e32 v29, v28
	v_fmac_f16_e32 v23, v28, v8
	v_mul_f16_sdwa v8, v29, v8 dst_sel:DWORD dst_unused:UNUSED_PAD src0_sel:WORD_1 src1_sel:DWORD
	v_add_nc_u32_e32 v28, 0xfffffc10, v19
	v_cndmask_b32_e64 v19, 0, 1, vcc_lo
	v_cmp_gt_i32_e32 vcc_lo, 31, v22
	v_cvt_f32_f16_e32 v9, v23
	v_lshrrev_b32_e32 v23, 16, v10
	v_fma_f16 v8, v29, v20, -v8
	v_lshl_or_b32 v20, v28, 12, v3
	v_cndmask_b32_e32 v12, 0x7c00, v12, vcc_lo
	v_cvt_f64_f32_e32 v[9:10], v9
	v_cmp_gt_i32_e32 vcc_lo, 1, v28
	v_lshl_or_b32 v29, v19, 9, 0x7c00
	v_cvt_f32_f16_e32 v8, v8
	v_cndmask_b32_e32 v5, v20, v5, vcc_lo
	v_cmp_eq_u32_e32 vcc_lo, 0x40f, v22
	v_and_or_b32 v20, 0x8000, v23, v24
	v_and_b32_e32 v22, 7, v5
	v_lshrrev_b32_e32 v5, 2, v5
	v_mul_f64 v[18:19], v[9:10], s[12:13]
	v_lshrrev_b32_e32 v9, v25, v26
	v_cndmask_b32_e32 v10, v12, v29, vcc_lo
	v_lshrrev_b32_e32 v12, 16, v21
	v_cmp_lt_i32_e32 vcc_lo, 5, v22
	v_lshlrev_b32_e32 v23, v25, v9
	v_and_or_b32 v10, 0x8000, v12, v10
	v_and_b32_e32 v12, 0xffff, v20
	v_cvt_f64_f32_e32 v[20:21], v8
	v_cmp_ne_u32_e64 s0, v23, v26
	v_lshl_or_b32 v23, v1, 12, v14
	v_lshl_or_b32 v10, v10, 16, v12
	v_cndmask_b32_e64 v8, 0, 1, s0
	v_cmp_eq_u32_e64 s0, 3, v22
	v_or_b32_e32 v22, v9, v8
	s_or_b32 vcc_lo, s0, vcc_lo
	ds_read2_b32 v[8:9], v187 offset0:76 offset1:125
	v_add_co_ci_u32_e32 v5, vcc_lo, 0, v5, vcc_lo
	v_cmp_ne_u32_e32 vcc_lo, 0, v3
	v_and_or_b32 v18, 0x1ff, v19, v18
	v_bfe_u32 v24, v19, 20, 11
	s_waitcnt vmcnt(0)
	v_mov_b32_e32 v30, v27
	v_cndmask_b32_e64 v3, 0, 1, vcc_lo
	v_cmp_gt_i32_e32 vcc_lo, 1, v1
	v_mul_f64 v[20:21], v[20:21], s[12:13]
	v_lshl_or_b32 v3, v3, 9, 0x7c00
	v_cndmask_b32_e32 v22, v23, v22, vcc_lo
	v_cmp_ne_u32_e32 vcc_lo, 0, v18
	v_lshrrev_b32_e32 v23, 8, v19
	v_and_b32_e32 v12, 7, v22
	v_cndmask_b32_e64 v18, 0, 1, vcc_lo
	v_cmp_gt_i32_e32 vcc_lo, 31, v28
	s_waitcnt lgkmcnt(0)
	v_lshrrev_b32_e32 v25, 16, v8
	v_cmp_eq_u32_e64 s0, 3, v12
	v_and_or_b32 v18, 0xffe, v23, v18
	v_cndmask_b32_e32 v5, 0x7c00, v5, vcc_lo
	v_cmp_eq_u32_e32 vcc_lo, 0x40f, v28
	v_sub_nc_u32_e32 v23, 0x3f1, v24
	v_add_nc_u32_e32 v24, 0xfffffc10, v24
	v_or_b32_e32 v26, 0x1000, v18
	v_cndmask_b32_e32 v3, v5, v3, vcc_lo
	v_cmp_lt_i32_e32 vcc_lo, 5, v12
	v_mul_f16_sdwa v5, v27, v25 dst_sel:DWORD dst_unused:UNUSED_PAD src0_sel:WORD_1 src1_sel:DWORD
	v_med3_i32 v23, v23, 0, 13
	v_and_or_b32 v20, 0x1ff, v21, v20
	v_and_or_b32 v3, 0x8000, v6, v3
	v_lshrrev_b32_e32 v6, 2, v22
	s_or_b32 vcc_lo, s0, vcc_lo
	v_fmac_f16_e32 v5, v27, v8
	v_lshrrev_b32_e32 v12, v23, v26
	v_lshrrev_b32_e32 v27, 8, v21
	v_add_co_ci_u32_e32 v22, vcc_lo, 0, v6, vcc_lo
	v_cmp_ne_u32_e32 vcc_lo, 0, v20
	v_cvt_f32_f16_e32 v5, v5
	v_bfe_u32 v28, v21, 20, 11
	v_lshlrev_b32_e32 v23, v23, v12
	v_mul_f16_sdwa v8, v30, v8 dst_sel:DWORD dst_unused:UNUSED_PAD src0_sel:WORD_1 src1_sel:DWORD
	v_cndmask_b32_e64 v20, 0, 1, vcc_lo
	v_cmp_ne_u32_e32 vcc_lo, 0, v14
	v_cvt_f64_f32_e32 v[5:6], v5
	v_and_b32_e32 v3, 0xffff, v3
	v_fma_f16 v8, v30, v25, -v8
	v_and_or_b32 v20, 0xffe, v27, v20
	v_cndmask_b32_e64 v14, 0, 1, vcc_lo
	v_sub_nc_u32_e32 v27, 0x3f1, v28
	v_cmp_ne_u32_e32 vcc_lo, v23, v26
	v_cvt_f32_f16_e32 v8, v8
	v_or_b32_e32 v26, 0x1000, v20
	v_lshl_or_b32 v14, v14, 9, 0x7c00
	v_med3_i32 v27, v27, 0, 13
	v_cndmask_b32_e64 v23, 0, 1, vcc_lo
	v_cmp_gt_i32_e32 vcc_lo, 31, v1
	v_lshrrev_b32_e32 v21, 16, v21
	v_lshrrev_b32_e32 v29, v27, v26
	v_or_b32_e32 v12, v12, v23
	v_cndmask_b32_e32 v22, 0x7c00, v22, vcc_lo
	v_lshl_or_b32 v23, v24, 12, v18
	v_cmp_gt_i32_e32 vcc_lo, 1, v24
	v_mul_f64 v[5:6], v[5:6], s[12:13]
	v_cndmask_b32_e32 v12, v23, v12, vcc_lo
	v_cmp_eq_u32_e32 vcc_lo, 0x40f, v1
	v_lshlrev_b32_e32 v23, v27, v29
	v_and_b32_e32 v25, 7, v12
	v_cndmask_b32_e32 v1, v22, v14, vcc_lo
	v_lshrrev_b32_e32 v22, 16, v15
	v_cmp_ne_u32_e64 s0, v23, v26
	v_add_co_u32 v14, vcc_lo, v16, s10
	v_add_co_ci_u32_e32 v15, vcc_lo, s7, v17, vcc_lo
	v_and_or_b32 v1, 0x8000, v22, v1
	v_cmp_lt_i32_e32 vcc_lo, 5, v25
	v_cndmask_b32_e64 v22, 0, 1, s0
	v_cmp_eq_u32_e64 s0, 3, v25
	v_cvt_f64_f32_e32 v[16:17], v8
	v_lshrrev_b32_e32 v8, 2, v12
	v_add_nc_u32_e32 v23, 0xfffffc10, v28
	v_or_b32_e32 v12, v29, v22
	s_or_b32 vcc_lo, s0, vcc_lo
	v_and_or_b32 v5, 0x1ff, v6, v5
	v_add_co_ci_u32_e32 v8, vcc_lo, 0, v8, vcc_lo
	v_cmp_ne_u32_e32 vcc_lo, 0, v18
	v_lshl_or_b32 v22, v23, 12, v20
	v_lshrrev_b32_e32 v25, 8, v6
	global_store_dword v[14:15], v10, off
	v_lshrrev_b32_e32 v10, 16, v11
	v_cndmask_b32_e64 v18, 0, 1, vcc_lo
	v_cmp_gt_i32_e32 vcc_lo, 1, v23
	v_bfe_u32 v26, v6, 20, 11
	v_lshl_or_b32 v1, v1, 16, v3
	v_lshl_or_b32 v18, v18, 9, 0x7c00
	v_cndmask_b32_e32 v12, v22, v12, vcc_lo
	v_cmp_gt_i32_e32 vcc_lo, 31, v24
	v_mul_f64 v[16:17], v[16:17], s[12:13]
	v_and_b32_e32 v22, 7, v12
	v_cndmask_b32_e32 v8, 0x7c00, v8, vcc_lo
	v_cmp_ne_u32_e32 vcc_lo, 0, v5
	v_lshrrev_b32_e32 v12, 2, v12
	v_cmp_eq_u32_e64 s0, 3, v22
	v_cndmask_b32_e64 v5, 0, 1, vcc_lo
	v_cmp_eq_u32_e32 vcc_lo, 0x40f, v24
	v_and_or_b32 v5, 0xffe, v25, v5
	buffer_load_dword v25, off, s[20:23], 0 offset:44 ; 4-byte Folded Reload
	v_cndmask_b32_e32 v8, v8, v18, vcc_lo
	v_cmp_lt_i32_e32 vcc_lo, 5, v22
	v_sub_nc_u32_e32 v18, 0x3f1, v26
	v_or_b32_e32 v22, 0x1000, v5
	v_add_nc_u32_e32 v26, 0xfffffc10, v26
	s_or_b32 vcc_lo, s0, vcc_lo
	v_med3_i32 v18, v18, 0, 13
	v_add_co_ci_u32_e32 v12, vcc_lo, 0, v12, vcc_lo
	v_cmp_ne_u32_e32 vcc_lo, 0, v20
	v_and_or_b32 v16, 0x1ff, v17, v16
	v_lshrrev_b32_e32 v20, v18, v22
	v_lshlrev_b32_e32 v28, v18, v20
	s_waitcnt vmcnt(0)
	v_mul_f16_sdwa v24, v25, v10 dst_sel:DWORD dst_unused:UNUSED_PAD src0_sel:WORD_1 src1_sel:DWORD
	v_mov_b32_e32 v29, v25
	v_fmac_f16_e32 v24, v25, v11
	v_mul_f16_sdwa v11, v29, v11 dst_sel:DWORD dst_unused:UNUSED_PAD src0_sel:WORD_1 src1_sel:DWORD
	v_lshrrev_b32_e32 v25, 16, v19
	v_cndmask_b32_e64 v19, 0, 1, vcc_lo
	v_cmp_gt_i32_e32 vcc_lo, 31, v23
	v_cvt_f32_f16_e32 v24, v24
	v_fma_f16 v10, v29, v10, -v11
	buffer_load_dword v29, off, s[20:23], 0 offset:40 ; 4-byte Folded Reload
	v_lshl_or_b32 v27, v19, 9, 0x7c00
	v_cndmask_b32_e32 v12, 0x7c00, v12, vcc_lo
	v_cmp_ne_u32_e32 vcc_lo, 0, v16
	v_cvt_f64_f32_e32 v[18:19], v24
	v_and_or_b32 v8, 0x8000, v25, v8
	v_lshrrev_b32_e32 v24, 8, v17
	v_bfe_u32 v25, v17, 20, 11
	v_cndmask_b32_e64 v16, 0, 1, vcc_lo
	v_cmp_ne_u32_e32 vcc_lo, v28, v22
	v_and_b32_e32 v8, 0xffff, v8
	v_cvt_f32_f16_e32 v10, v10
	v_and_or_b32 v16, 0xffe, v24, v16
	v_cndmask_b32_e64 v22, 0, 1, vcc_lo
	v_sub_nc_u32_e32 v24, 0x3f1, v25
	v_cmp_eq_u32_e32 vcc_lo, 0x40f, v23
	v_or_b32_e32 v23, 0x1000, v16
	v_or_b32_e32 v20, v20, v22
	v_lshl_or_b32 v22, v26, 12, v5
	v_cndmask_b32_e32 v12, v12, v27, vcc_lo
	v_med3_i32 v24, v24, 0, 13
	v_cmp_gt_i32_e32 vcc_lo, 1, v26
	v_mul_f64 v[18:19], v[18:19], s[12:13]
	v_and_or_b32 v12, 0x8000, v21, v12
	v_cndmask_b32_e32 v3, v22, v20, vcc_lo
	v_lshrrev_b32_e32 v22, v24, v23
	v_add_co_u32 v14, vcc_lo, v14, s10
	v_add_co_ci_u32_e32 v15, vcc_lo, s7, v15, vcc_lo
	v_lshlrev_b32_e32 v20, v24, v22
	v_and_b32_e32 v24, 7, v3
	v_lshrrev_b32_e32 v3, 2, v3
	v_lshl_or_b32 v8, v12, 16, v8
	v_add_nc_u32_e32 v12, 0xfffffc10, v25
	v_cmp_ne_u32_e32 vcc_lo, v20, v23
	v_cmp_eq_u32_e64 s0, 3, v24
	v_cvt_f64_f32_e32 v[20:21], v10
	global_store_dword v[14:15], v1, off
	v_lshl_or_b32 v23, v12, 12, v16
	v_cndmask_b32_e64 v11, 0, 1, vcc_lo
	v_cmp_lt_i32_e32 vcc_lo, 5, v24
	v_and_or_b32 v18, 0x1ff, v19, v18
	v_or_b32_e32 v22, v22, v11
	s_or_b32 vcc_lo, s0, vcc_lo
	ds_read2_b32 v[10:11], v181 offset0:122 offset1:171
	v_add_co_ci_u32_e32 v3, vcc_lo, 0, v3, vcc_lo
	v_cmp_gt_i32_e32 vcc_lo, 1, v12
	v_lshrrev_b32_e32 v24, 8, v19
	v_bfe_u32 v25, v19, 20, 11
	v_lshrrev_b32_e32 v19, 16, v19
	v_cndmask_b32_e32 v22, v23, v22, vcc_lo
	v_cmp_ne_u32_e32 vcc_lo, 0, v5
	v_mul_f64 v[20:21], v[20:21], s[12:13]
	v_and_b32_e32 v23, 7, v22
	v_cndmask_b32_e64 v5, 0, 1, vcc_lo
	v_cmp_gt_i32_e32 vcc_lo, 31, v26
	v_lshrrev_b32_e32 v22, 2, v22
	v_cmp_eq_u32_e64 s0, 3, v23
	v_lshl_or_b32 v5, v5, 9, 0x7c00
	v_cndmask_b32_e32 v3, 0x7c00, v3, vcc_lo
	v_cmp_ne_u32_e32 vcc_lo, 0, v18
	s_waitcnt lgkmcnt(0)
	v_lshrrev_b32_e32 v27, 16, v10
	v_cndmask_b32_e64 v18, 0, 1, vcc_lo
	v_cmp_lt_i32_e32 vcc_lo, 5, v23
	v_and_or_b32 v18, 0xffe, v24, v18
	s_or_b32 vcc_lo, s0, vcc_lo
	v_sub_nc_u32_e32 v24, 0x3f1, v25
	v_add_co_ci_u32_e32 v22, vcc_lo, 0, v22, vcc_lo
	v_cmp_eq_u32_e32 vcc_lo, 0x40f, v26
	v_or_b32_e32 v23, 0x1000, v18
	v_med3_i32 v24, v24, 0, 13
	v_and_or_b32 v20, 0x1ff, v21, v20
	v_cndmask_b32_e32 v3, v3, v5, vcc_lo
	v_cmp_ne_u32_e32 vcc_lo, 0, v16
	v_lshrrev_b32_e32 v16, v24, v23
	v_cndmask_b32_e64 v5, 0, 1, vcc_lo
	v_cmp_gt_i32_e32 vcc_lo, 31, v12
	v_lshlrev_b32_e32 v24, v24, v16
	v_cndmask_b32_e32 v22, 0x7c00, v22, vcc_lo
	v_cmp_eq_u32_e32 vcc_lo, 0x40f, v12
	s_waitcnt vmcnt(0)
	v_mul_f16_sdwa v28, v29, v27 dst_sel:DWORD dst_unused:UNUSED_PAD src0_sel:WORD_1 src1_sel:DWORD
	v_mov_b32_e32 v32, v29
	v_fmac_f16_e32 v28, v29, v10
	v_lshrrev_b32_e32 v29, 16, v6
	v_cvt_f32_f16_e32 v26, v28
	v_lshl_or_b32 v28, v5, 9, 0x7c00
	v_and_or_b32 v3, 0x8000, v29, v3
	v_cvt_f64_f32_e32 v[5:6], v26
	v_cndmask_b32_e32 v12, v22, v28, vcc_lo
	v_cmp_ne_u32_e32 vcc_lo, 0, v20
	v_lshrrev_b32_e32 v22, 8, v21
	v_bfe_u32 v26, v21, 20, 11
	v_and_b32_e32 v3, 0xffff, v3
	v_cndmask_b32_e64 v20, 0, 1, vcc_lo
	v_cmp_ne_u32_e32 vcc_lo, v24, v23
	v_add_nc_u32_e32 v24, 0xfffffc10, v25
	v_lshrrev_b32_e32 v25, 16, v17
	v_and_or_b32 v20, 0xffe, v22, v20
	v_cndmask_b32_e64 v23, 0, 1, vcc_lo
	v_sub_nc_u32_e32 v22, 0x3f1, v26
	v_lshl_or_b32 v28, v24, 12, v18
	v_and_or_b32 v12, 0x8000, v25, v12
	v_or_b32_e32 v30, 0x1000, v20
	v_or_b32_e32 v23, v16, v23
	v_add_co_u32 v16, vcc_lo, v14, s8
	v_add_co_ci_u32_e32 v17, vcc_lo, s9, v15, vcc_lo
	v_cmp_gt_i32_e32 vcc_lo, 1, v24
	v_med3_i32 v31, v22, 0, 13
	v_lshl_or_b32 v3, v12, 16, v3
	global_store_dword v[16:17], v8, off
	v_cndmask_b32_e32 v25, v28, v23, vcc_lo
	v_lshrrev_b32_e32 v28, v31, v30
	v_mul_f64 v[22:23], v[5:6], s[12:13]
	v_mul_f16_sdwa v5, v32, v10 dst_sel:DWORD dst_unused:UNUSED_PAD src0_sel:WORD_1 src1_sel:DWORD
	v_add_nc_u32_e32 v10, 0xfffffc10, v26
	v_and_b32_e32 v1, 7, v25
	v_lshlrev_b32_e32 v6, v31, v28
	v_fma_f16 v5, v32, v27, -v5
	v_lshl_or_b32 v12, v10, 12, v20
	v_cmp_lt_i32_e32 vcc_lo, 5, v1
	v_cmp_eq_u32_e64 s0, 3, v1
	v_lshrrev_b32_e32 v1, 2, v25
	v_cmp_ne_u32_e64 s1, v6, v30
	v_cvt_f32_f16_e32 v5, v5
	s_or_b32 vcc_lo, s0, vcc_lo
	v_add_co_ci_u32_e32 v1, vcc_lo, 0, v1, vcc_lo
	v_cndmask_b32_e64 v8, 0, 1, s1
	v_cmp_ne_u32_e32 vcc_lo, 0, v18
	v_cvt_f64_f32_e32 v[5:6], v5
	v_cmp_eq_u32_e64 s1, 0x40f, v24
	v_and_or_b32 v14, 0x1ff, v23, v22
	v_or_b32_e32 v8, v28, v8
	v_cndmask_b32_e64 v15, 0, 1, vcc_lo
	v_cmp_gt_i32_e32 vcc_lo, 1, v10
	v_lshrrev_b32_e32 v22, 8, v23
	v_bfe_u32 v25, v23, 20, 11
	v_lshrrev_b32_e32 v23, 16, v23
	v_cndmask_b32_e32 v8, v12, v8, vcc_lo
	v_cmp_gt_i32_e32 vcc_lo, 31, v24
	v_lshl_or_b32 v12, v15, 9, 0x7c00
	v_and_b32_e32 v26, 7, v8
	v_cndmask_b32_e32 v1, 0x7c00, v1, vcc_lo
	v_cmp_ne_u32_e32 vcc_lo, 0, v14
	v_lshrrev_b32_e32 v8, 2, v8
	v_cmp_eq_u32_e64 s0, 3, v26
	v_cndmask_b32_e64 v1, v1, v12, s1
	v_cndmask_b32_e64 v18, 0, 1, vcc_lo
	v_add_co_u32 v14, vcc_lo, v16, s10
	v_add_co_ci_u32_e32 v15, vcc_lo, s7, v17, vcc_lo
	v_cmp_lt_i32_e32 vcc_lo, 5, v26
	buffer_load_dword v26, off, s[20:23], 0 offset:36 ; 4-byte Folded Reload
	v_and_or_b32 v22, 0xffe, v22, v18
	v_sub_nc_u32_e32 v18, 0x3f1, v25
	v_mul_f64 v[16:17], v[5:6], s[12:13]
	s_or_b32 vcc_lo, s0, vcc_lo
	v_add_nc_u32_e32 v25, 0xfffffc10, v25
	v_or_b32_e32 v5, 0x1000, v22
	v_med3_i32 v6, v18, 0, 13
	v_lshrrev_b32_e32 v18, 16, v13
	v_add_co_ci_u32_e32 v8, vcc_lo, 0, v8, vcc_lo
	v_cmp_ne_u32_e32 vcc_lo, 0, v20
	v_lshrrev_b32_e32 v12, v6, v5
	v_and_or_b32 v1, 0x8000, v19, v1
	global_store_dword v[14:15], v3, off
	v_add_co_u32 v14, s1, v14, s10
	v_lshlrev_b32_e32 v6, v6, v12
	v_cndmask_b32_e64 v20, 0, 1, vcc_lo
	v_cmp_gt_i32_e32 vcc_lo, 31, v10
	v_and_b32_e32 v1, 0xffff, v1
	v_add_co_ci_u32_e64 v15, s1, s7, v15, s1
	v_lshl_or_b32 v20, v20, 9, 0x7c00
	v_cndmask_b32_e32 v8, 0x7c00, v8, vcc_lo
	v_cmp_ne_u32_e32 vcc_lo, v6, v5
	v_and_or_b32 v16, 0x1ff, v17, v16
	v_cmp_eq_u32_e64 s1, 0x40f, v25
	s_waitcnt vmcnt(0)
	v_mul_f16_sdwa v24, v26, v18 dst_sel:DWORD dst_unused:UNUSED_PAD src0_sel:WORD_1 src1_sel:DWORD
	v_mov_b32_e32 v27, v26
	v_fmac_f16_e32 v24, v26, v13
	v_mul_f16_sdwa v13, v27, v13 dst_sel:DWORD dst_unused:UNUSED_PAD src0_sel:WORD_1 src1_sel:DWORD
	v_cndmask_b32_e64 v26, 0, 1, vcc_lo
	v_cmp_eq_u32_e32 vcc_lo, 0x40f, v10
	v_lshrrev_b32_e32 v10, 16, v21
	v_cvt_f32_f16_e32 v24, v24
	v_fma_f16 v18, v27, v18, -v13
	buffer_load_dword v27, off, s[20:23], 0 offset:32 ; 4-byte Folded Reload
	v_cndmask_b32_e32 v8, v8, v20, vcc_lo
	v_cmp_ne_u32_e32 vcc_lo, 0, v16
	v_cvt_f64_f32_e32 v[5:6], v24
	v_lshrrev_b32_e32 v20, 8, v17
	v_bfe_u32 v21, v17, 20, 11
	v_or_b32_e32 v12, v12, v26
	v_cndmask_b32_e64 v16, 0, 1, vcc_lo
	v_lshl_or_b32 v24, v25, 12, v22
	v_cmp_gt_i32_e32 vcc_lo, 1, v25
	v_and_or_b32 v8, 0x8000, v10, v8
	v_and_or_b32 v10, 0xffe, v20, v16
	v_sub_nc_u32_e32 v16, 0x3f1, v21
	v_cndmask_b32_e32 v20, v24, v12, vcc_lo
	v_lshl_or_b32 v1, v8, 16, v1
	v_or_b32_e32 v24, 0x1000, v10
	v_med3_i32 v16, v16, 0, 13
	v_and_b32_e32 v3, 7, v20
	v_lshrrev_b32_e32 v8, 2, v20
	global_store_dword v[14:15], v1, off
	v_lshrrev_b32_e32 v26, v16, v24
	v_cmp_lt_i32_e32 vcc_lo, 5, v3
	v_mul_f64 v[12:13], v[5:6], s[12:13]
	v_cvt_f32_f16_e32 v5, v18
	v_cmp_eq_u32_e64 s0, 3, v3
	v_lshlrev_b32_e32 v3, v16, v26
	v_add_nc_u32_e32 v16, 0xfffffc10, v21
	v_cvt_f64_f32_e32 v[18:19], v5
	s_or_b32 vcc_lo, s0, vcc_lo
	ds_read2_b32 v[5:6], v188 offset0:168 offset1:217
	v_add_co_ci_u32_e32 v8, vcc_lo, 0, v8, vcc_lo
	v_cmp_ne_u32_e32 vcc_lo, v3, v24
	v_lshl_or_b32 v21, v16, 12, v10
	v_cndmask_b32_e64 v3, 0, 1, vcc_lo
	v_cmp_ne_u32_e32 vcc_lo, 0, v22
	v_or_b32_e32 v3, v26, v3
	v_cndmask_b32_e64 v20, 0, 1, vcc_lo
	v_cmp_gt_i32_e32 vcc_lo, 31, v25
	v_and_or_b32 v12, 0x1ff, v13, v12
	v_bfe_u32 v22, v13, 20, 11
	v_lshl_or_b32 v20, v20, 9, 0x7c00
	v_mul_f64 v[18:19], v[18:19], s[12:13]
	v_cndmask_b32_e32 v8, 0x7c00, v8, vcc_lo
	v_cmp_gt_i32_e32 vcc_lo, 1, v16
	s_waitcnt lgkmcnt(0)
	v_lshrrev_b32_e32 v24, 16, v5
	v_cndmask_b32_e64 v8, v8, v20, s1
	v_cndmask_b32_e32 v3, v21, v3, vcc_lo
	v_cmp_ne_u32_e32 vcc_lo, 0, v12
	v_lshrrev_b32_e32 v21, 8, v13
	v_and_or_b32 v8, 0x8000, v23, v8
	v_and_b32_e32 v26, 7, v3
	v_cndmask_b32_e64 v12, 0, 1, vcc_lo
	v_lshrrev_b32_e32 v3, 2, v3
	v_and_b32_e32 v8, 0xffff, v8
	v_cmp_lt_i32_e32 vcc_lo, 5, v26
	v_cmp_eq_u32_e64 s0, 3, v26
	v_and_or_b32 v1, 0xffe, v21, v12
	v_sub_nc_u32_e32 v12, 0x3f1, v22
	v_add_nc_u32_e32 v22, 0xfffffc10, v22
	v_and_or_b32 v18, 0x1ff, v19, v18
	s_or_b32 vcc_lo, s0, vcc_lo
	v_or_b32_e32 v26, 0x1000, v1
	v_add_co_ci_u32_e32 v3, vcc_lo, 0, v3, vcc_lo
	v_med3_i32 v12, v12, 0, 13
	v_cmp_ne_u32_e32 vcc_lo, 0, v18
	v_bfe_u32 v28, v19, 20, 11
	v_lshrrev_b32_e32 v25, v12, v26
	v_cndmask_b32_e64 v18, 0, 1, vcc_lo
	v_cmp_gt_i32_e32 vcc_lo, 31, v16
	v_lshlrev_b32_e32 v12, v12, v25
	v_cndmask_b32_e32 v3, 0x7c00, v3, vcc_lo
	v_cmp_ne_u32_e32 vcc_lo, 0, v10
	v_cndmask_b32_e64 v10, 0, 1, vcc_lo
	v_cmp_ne_u32_e32 vcc_lo, v12, v26
	v_lshl_or_b32 v10, v10, 9, 0x7c00
	v_cndmask_b32_e64 v12, 0, 1, vcc_lo
	v_cmp_gt_i32_e32 vcc_lo, 1, v22
	v_or_b32_e32 v12, v25, v12
	v_lshl_or_b32 v25, v22, 12, v1
	v_cndmask_b32_e32 v12, v25, v12, vcc_lo
	v_cmp_eq_u32_e32 vcc_lo, 0x40f, v16
	v_lshrrev_b32_e32 v25, 16, v7
	v_and_b32_e32 v16, 7, v12
	v_cndmask_b32_e32 v3, v3, v10, vcc_lo
	v_lshrrev_b32_e32 v10, 16, v17
	v_cmp_lt_i32_e32 vcc_lo, 5, v16
	v_cmp_eq_u32_e64 s0, 3, v16
	v_and_or_b32 v3, 0x8000, v10, v3
	v_lshrrev_b32_e32 v10, 2, v12
	v_add_nc_u32_e32 v12, 0xfffffc10, v28
	s_or_b32 vcc_lo, s0, vcc_lo
	v_add_co_ci_u32_e32 v10, vcc_lo, 0, v10, vcc_lo
	v_cmp_ne_u32_e32 vcc_lo, 0, v1
	v_cndmask_b32_e64 v1, 0, 1, vcc_lo
	v_cmp_gt_i32_e32 vcc_lo, 31, v22
	v_lshl_or_b32 v1, v1, 9, 0x7c00
	v_cndmask_b32_e32 v10, 0x7c00, v10, vcc_lo
	s_waitcnt vmcnt(0)
	v_mul_f16_sdwa v21, v27, v24 dst_sel:DWORD dst_unused:UNUSED_PAD src0_sel:WORD_1 src1_sel:DWORD
	v_mov_b32_e32 v30, v27
	v_fmac_f16_e32 v21, v27, v5
	v_lshrrev_b32_e32 v27, 8, v19
	v_mul_f16_sdwa v5, v30, v5 dst_sel:DWORD dst_unused:UNUSED_PAD src0_sel:WORD_1 src1_sel:DWORD
	v_lshrrev_b32_e32 v19, 16, v19
	v_cvt_f32_f16_e32 v20, v21
	v_and_or_b32 v18, 0xffe, v27, v18
	v_sub_nc_u32_e32 v27, 0x3f1, v28
	buffer_load_dword v28, off, s[20:23], 0 offset:28 ; 4-byte Folded Reload
	v_fma_f16 v5, v30, v24, -v5
	v_cvt_f64_f32_e32 v[20:21], v20
	v_or_b32_e32 v26, 0x1000, v18
	v_med3_i32 v27, v27, 0, 13
	v_lshl_or_b32 v23, v12, 12, v18
	v_cvt_f32_f16_e32 v5, v5
	v_lshrrev_b32_e32 v29, v27, v26
	v_cvt_f64_f32_e32 v[16:17], v5
	v_lshlrev_b32_e32 v24, v27, v29
	v_cmp_ne_u32_e64 s1, v24, v26
	v_mul_f64 v[20:21], v[20:21], s[12:13]
	v_cndmask_b32_e64 v5, 0, 1, s1
	v_or_b32_e32 v5, v29, v5
	v_mul_f64 v[16:17], v[16:17], s[12:13]
	v_and_or_b32 v20, 0x1ff, v21, v20
	v_lshrrev_b32_e32 v24, 8, v21
	v_bfe_u32 v26, v21, 20, 11
	v_lshrrev_b32_e32 v21, 16, v21
	v_cmp_ne_u32_e32 vcc_lo, 0, v20
	v_and_or_b32 v16, 0x1ff, v17, v16
	v_cndmask_b32_e64 v20, 0, 1, vcc_lo
	v_cmp_gt_i32_e32 vcc_lo, 1, v12
	v_and_or_b32 v20, 0xffe, v24, v20
	v_cndmask_b32_e32 v5, v23, v5, vcc_lo
	v_cmp_eq_u32_e32 vcc_lo, 0x40f, v22
	v_sub_nc_u32_e32 v24, 0x3f1, v26
	v_add_nc_u32_e32 v26, 0xfffffc10, v26
	v_and_b32_e32 v27, 7, v5
	v_cndmask_b32_e32 v1, v10, v1, vcc_lo
	v_lshrrev_b32_e32 v5, 2, v5
	v_med3_i32 v24, v24, 0, 13
	v_cmp_lt_i32_e32 vcc_lo, 5, v27
	v_cmp_eq_u32_e64 s0, 3, v27
	v_bfe_u32 v27, v17, 20, 11
	s_or_b32 vcc_lo, s0, vcc_lo
	v_add_co_ci_u32_e32 v5, vcc_lo, 0, v5, vcc_lo
	v_cmp_ne_u32_e32 vcc_lo, 0, v18
	v_cndmask_b32_e64 v18, 0, 1, vcc_lo
	v_cmp_gt_i32_e32 vcc_lo, 31, v12
	v_cndmask_b32_e32 v5, 0x7c00, v5, vcc_lo
	s_waitcnt vmcnt(0)
	v_mul_f16_sdwa v23, v28, v25 dst_sel:DWORD dst_unused:UNUSED_PAD src0_sel:WORD_1 src1_sel:DWORD
	v_mov_b32_e32 v30, v28
	v_fmac_f16_e32 v23, v28, v7
	v_or_b32_e32 v28, 0x1000, v20
	v_mul_f16_sdwa v7, v30, v7 dst_sel:DWORD dst_unused:UNUSED_PAD src0_sel:WORD_1 src1_sel:DWORD
	v_cvt_f32_f16_e32 v10, v23
	v_lshrrev_b32_e32 v29, v24, v28
	v_fma_f16 v7, v30, v25, -v7
	v_cvt_f64_f32_e32 v[22:23], v10
	v_lshrrev_b32_e32 v10, 16, v13
	v_lshlrev_b32_e32 v13, v24, v29
	v_lshrrev_b32_e32 v24, 8, v17
	v_cvt_f32_f16_e32 v7, v7
	v_and_or_b32 v1, 0x8000, v10, v1
	v_cmp_ne_u32_e32 vcc_lo, v13, v28
	v_lshl_or_b32 v10, v18, 9, 0x7c00
	v_and_b32_e32 v1, 0xffff, v1
	v_cndmask_b32_e64 v18, 0, 1, vcc_lo
	v_cmp_ne_u32_e32 vcc_lo, 0, v16
	v_or_b32_e32 v18, v29, v18
	v_cndmask_b32_e64 v16, 0, 1, vcc_lo
	v_cmp_eq_u32_e32 vcc_lo, 0x40f, v12
	v_mul_f64 v[12:13], v[22:23], s[12:13]
	v_lshl_or_b32 v22, v26, 12, v20
	v_cndmask_b32_e32 v5, v5, v10, vcc_lo
	v_cmp_gt_i32_e32 vcc_lo, 1, v26
	v_and_or_b32 v10, 0xffe, v24, v16
	v_sub_nc_u32_e32 v16, 0x3f1, v27
	v_and_or_b32 v5, 0x8000, v19, v5
	v_cndmask_b32_e32 v18, v22, v18, vcc_lo
	v_or_b32_e32 v23, 0x1000, v10
	v_med3_i32 v16, v16, 0, 13
	v_lshl_or_b32 v22, v3, 16, v8
	v_cvt_f64_f32_e32 v[7:8], v7
	v_and_b32_e32 v24, 7, v18
	v_lshrrev_b32_e32 v18, 2, v18
	v_lshrrev_b32_e32 v3, v16, v23
	v_lshl_or_b32 v1, v5, 16, v1
	v_cmp_lt_i32_e32 vcc_lo, 5, v24
	v_cmp_eq_u32_e64 s0, 3, v24
	v_lshlrev_b32_e32 v16, v16, v3
	v_and_or_b32 v12, 0x1ff, v13, v12
	v_lshrrev_b32_e32 v19, 8, v13
	s_or_b32 vcc_lo, s0, vcc_lo
	v_cmp_ne_u32_e64 s1, v16, v23
	v_add_co_ci_u32_e32 v18, vcc_lo, 0, v18, vcc_lo
	v_cmp_ne_u32_e32 vcc_lo, 0, v12
	v_add_nc_u32_e32 v23, 0xfffffc10, v27
	v_cndmask_b32_e64 v16, 0, 1, s1
	v_bfe_u32 v24, v13, 20, 11
	v_lshrrev_b32_e32 v27, 16, v4
	v_cndmask_b32_e64 v12, 0, 1, vcc_lo
	v_cmp_ne_u32_e32 vcc_lo, 0, v20
	v_or_b32_e32 v3, v3, v16
	v_lshl_or_b32 v16, v23, 12, v10
	v_mul_f64 v[7:8], v[7:8], s[12:13]
	v_and_or_b32 v12, 0xffe, v19, v12
	v_cndmask_b32_e64 v20, 0, 1, vcc_lo
	v_cmp_gt_i32_e32 vcc_lo, 1, v23
	v_lshl_or_b32 v19, v20, 9, 0x7c00
	v_cndmask_b32_e32 v3, v16, v3, vcc_lo
	v_cmp_gt_i32_e32 vcc_lo, 31, v26
	v_sub_nc_u32_e32 v16, 0x3f1, v24
	v_or_b32_e32 v20, 0x1000, v12
	v_and_b32_e32 v25, 7, v3
	v_cndmask_b32_e32 v18, 0x7c00, v18, vcc_lo
	v_add_co_u32 v14, vcc_lo, v14, s10
	v_add_co_ci_u32_e32 v15, vcc_lo, s7, v15, vcc_lo
	v_cmp_eq_u32_e32 vcc_lo, 0x40f, v26
	v_med3_i32 v16, v16, 0, 13
	v_cmp_eq_u32_e64 s0, 3, v25
	v_lshrrev_b32_e32 v3, 2, v3
	v_and_or_b32 v7, 0x1ff, v8, v7
	v_cndmask_b32_e32 v26, v18, v19, vcc_lo
	buffer_load_dword v19, off, s[20:23], 0 offset:24 ; 4-byte Folded Reload
	v_lshrrev_b32_e32 v5, v16, v20
	v_cmp_lt_i32_e32 vcc_lo, 5, v25
	v_bfe_u32 v25, v8, 20, 11
	v_and_or_b32 v21, 0x8000, v21, v26
	v_lshlrev_b32_e32 v16, v16, v5
	s_or_b32 vcc_lo, s0, vcc_lo
	v_add_co_ci_u32_e32 v3, vcc_lo, 0, v3, vcc_lo
	v_cmp_ne_u32_e64 s1, v16, v20
	v_cmp_ne_u32_e32 vcc_lo, 0, v7
	v_add_nc_u32_e32 v20, 0xfffffc10, v24
	v_lshrrev_b32_e32 v24, 8, v8
	v_and_b32_e32 v21, 0xffff, v21
	v_cndmask_b32_e64 v16, 0, 1, s1
	v_cndmask_b32_e64 v7, 0, 1, vcc_lo
	v_cmp_ne_u32_e32 vcc_lo, 0, v10
	v_lshrrev_b32_e32 v8, 16, v8
	v_or_b32_e32 v5, v5, v16
	v_lshl_or_b32 v16, v20, 12, v12
	v_cndmask_b32_e64 v10, 0, 1, vcc_lo
	v_cmp_gt_i32_e32 vcc_lo, 1, v20
	v_and_or_b32 v7, 0xffe, v24, v7
	v_lshl_or_b32 v10, v10, 9, 0x7c00
	v_cndmask_b32_e32 v5, v16, v5, vcc_lo
	v_cmp_gt_i32_e32 vcc_lo, 31, v23
	v_sub_nc_u32_e32 v16, 0x3f1, v25
	v_or_b32_e32 v28, 0x1000, v7
	v_cndmask_b32_e32 v24, 0x7c00, v3, vcc_lo
	v_add_co_u32 v3, vcc_lo, v14, s10
	v_med3_i32 v16, v16, 0, 13
	s_waitcnt vmcnt(0)
	v_mul_f16_sdwa v18, v19, v27 dst_sel:DWORD dst_unused:UNUSED_PAD src0_sel:WORD_1 src1_sel:DWORD
	v_mov_b32_e32 v30, v19
	v_fmac_f16_e32 v18, v19, v4
	v_mul_f16_sdwa v29, v30, v4 dst_sel:DWORD dst_unused:UNUSED_PAD src0_sel:WORD_1 src1_sel:DWORD
	v_add_co_ci_u32_e32 v4, vcc_lo, s7, v15, vcc_lo
	global_store_dword v[14:15], v22, off
	global_store_dword v[3:4], v1, off
	buffer_load_dword v22, off, s[20:23], 0 offset:20 ; 4-byte Folded Reload
	v_cvt_f32_f16_e32 v18, v18
	v_fma_f16 v27, v30, v27, -v29
	v_lshrrev_b32_e32 v29, v16, v28
	v_cmp_eq_u32_e32 vcc_lo, 0x40f, v23
	v_and_b32_e32 v30, 7, v5
	v_cvt_f64_f32_e32 v[18:19], v18
	v_cvt_f32_f16_e32 v23, v27
	v_lshlrev_b32_e32 v27, v16, v29
	v_cndmask_b32_e32 v10, v24, v10, vcc_lo
	v_lshrrev_b32_e32 v24, 16, v17
	v_cmp_lt_i32_e32 vcc_lo, 5, v30
	v_cmp_eq_u32_e64 s0, 3, v30
	v_lshrrev_b32_e32 v5, 2, v5
	v_cmp_ne_u32_e64 s1, v27, v28
	v_and_or_b32 v10, 0x8000, v24, v10
	v_add_nc_u32_e32 v24, 0xfffffc10, v25
	s_or_b32 vcc_lo, s0, vcc_lo
	v_lshrrev_b32_e32 v15, 16, v9
	v_add_co_ci_u32_e32 v5, vcc_lo, 0, v5, vcc_lo
	v_cmp_ne_u32_e32 vcc_lo, 0, v12
	v_lshl_or_b32 v25, v24, 12, v7
	v_cndmask_b32_e64 v12, 0, 1, vcc_lo
	v_cmp_gt_i32_e32 vcc_lo, 31, v20
	v_mul_f64 v[16:17], v[18:19], s[12:13]
	v_cvt_f64_f32_e32 v[18:19], v23
	v_cndmask_b32_e64 v23, 0, 1, s1
	v_lshl_or_b32 v12, v12, 9, 0x7c00
	v_cndmask_b32_e32 v5, 0x7c00, v5, vcc_lo
	v_cmp_gt_i32_e32 vcc_lo, 1, v24
	v_add_co_u32 v3, s1, v3, s10
	v_or_b32_e32 v23, v29, v23
	v_add_co_ci_u32_e64 v4, s1, s7, v4, s1
	v_cndmask_b32_e32 v23, v25, v23, vcc_lo
	v_cmp_eq_u32_e32 vcc_lo, 0x40f, v20
	v_lshrrev_b32_e32 v20, 16, v13
	v_cndmask_b32_e32 v5, v5, v12, vcc_lo
	v_and_b32_e32 v12, 7, v23
	v_and_or_b32 v16, 0x1ff, v17, v16
	v_mul_f64 v[18:19], v[18:19], s[12:13]
	v_lshrrev_b32_e32 v13, 8, v17
	v_bfe_u32 v14, v17, 20, 11
	v_cmp_eq_u32_e64 s0, 3, v12
	v_cmp_ne_u32_e32 vcc_lo, 0, v16
	v_lshl_or_b32 v16, v10, 16, v21
	v_and_or_b32 v5, 0x8000, v20, v5
	v_sub_nc_u32_e32 v10, 0x3f1, v14
	v_add_nc_u32_e32 v14, 0xfffffc10, v14
	v_cndmask_b32_e64 v1, 0, 1, vcc_lo
	v_cmp_lt_i32_e32 vcc_lo, 5, v12
	v_lshrrev_b32_e32 v12, 2, v23
	v_med3_i32 v10, v10, 0, 13
	v_and_b32_e32 v5, 0xffff, v5
	v_and_or_b32 v1, 0xffe, v13, v1
	s_or_b32 vcc_lo, s0, vcc_lo
	v_lshrrev_b32_e32 v17, 16, v17
	global_store_dword v[3:4], v16, off
	v_or_b32_e32 v21, 0x1000, v1
	v_and_or_b32 v18, 0x1ff, v19, v18
	v_lshrrev_b32_e32 v25, 8, v19
	v_lshrrev_b32_e32 v23, v10, v21
	v_bfe_u32 v26, v19, 20, 11
	v_lshrrev_b32_e32 v19, 16, v19
	v_lshlrev_b32_e32 v10, v10, v23
	s_waitcnt vmcnt(0)
	v_mul_f16_sdwa v13, v22, v15 dst_sel:DWORD dst_unused:UNUSED_PAD src0_sel:WORD_1 src1_sel:DWORD
	v_mov_b32_e32 v28, v22
	v_fmac_f16_e32 v13, v22, v9
	v_add_co_ci_u32_e32 v22, vcc_lo, 0, v12, vcc_lo
	v_cmp_ne_u32_e32 vcc_lo, 0, v18
	v_cvt_f32_f16_e32 v12, v13
	v_cndmask_b32_e64 v18, 0, 1, vcc_lo
	v_cmp_ne_u32_e32 vcc_lo, 0, v7
	v_cvt_f64_f32_e32 v[12:13], v12
	v_and_or_b32 v18, 0xffe, v25, v18
	v_cndmask_b32_e64 v7, 0, 1, vcc_lo
	v_cmp_ne_u32_e32 vcc_lo, v10, v21
	v_sub_nc_u32_e32 v25, 0x3f1, v26
	v_or_b32_e32 v21, 0x1000, v18
	v_lshl_or_b32 v7, v7, 9, 0x7c00
	v_cndmask_b32_e64 v10, 0, 1, vcc_lo
	v_cmp_gt_i32_e32 vcc_lo, 31, v24
	v_med3_i32 v25, v25, 0, 13
	v_or_b32_e32 v10, v23, v10
	v_cndmask_b32_e32 v22, 0x7c00, v22, vcc_lo
	v_cmp_eq_u32_e32 vcc_lo, 0x40f, v24
	buffer_load_dword v24, off, s[20:23], 0 offset:16 ; 4-byte Folded Reload
	v_lshl_or_b32 v23, v14, 12, v1
	v_lshrrev_b32_e32 v27, v25, v21
	v_cndmask_b32_e32 v7, v22, v7, vcc_lo
	v_mul_f16_sdwa v22, v28, v9 dst_sel:DWORD dst_unused:UNUSED_PAD src0_sel:WORD_1 src1_sel:DWORD
	v_cmp_gt_i32_e32 vcc_lo, 1, v14
	v_and_or_b32 v20, 0x8000, v8, v7
	v_cndmask_b32_e32 v23, v23, v10, vcc_lo
	v_mul_f64 v[9:10], v[12:13], s[12:13]
	v_fma_f16 v12, v28, v15, -v22
	v_lshlrev_b32_e32 v15, v25, v27
	v_lshl_or_b32 v5, v20, 16, v5
	v_and_b32_e32 v13, 7, v23
	v_cvt_f32_f16_e32 v7, v12
	v_cmp_ne_u32_e64 s0, v15, v21
	v_add_nc_u32_e32 v15, 0xfffffc10, v26
	v_cmp_lt_i32_e32 vcc_lo, 5, v13
	v_cvt_f64_f32_e32 v[7:8], v7
	v_cndmask_b32_e64 v12, 0, 1, s0
	v_cmp_eq_u32_e64 s0, 3, v13
	v_lshrrev_b32_e32 v13, 2, v23
	v_lshl_or_b32 v21, v15, 12, v18
	v_lshrrev_b32_e32 v23, 16, v0
	v_or_b32_e32 v12, v27, v12
	s_or_b32 vcc_lo, s0, vcc_lo
	v_add_co_ci_u32_e32 v13, vcc_lo, 0, v13, vcc_lo
	v_cmp_ne_u32_e32 vcc_lo, 0, v1
	v_and_or_b32 v9, 0x1ff, v10, v9
	v_lshrrev_b32_e32 v20, 8, v10
	v_cndmask_b32_e64 v1, 0, 1, vcc_lo
	v_cmp_gt_i32_e32 vcc_lo, 1, v15
	v_lshl_or_b32 v1, v1, 9, 0x7c00
	v_cndmask_b32_e32 v12, v21, v12, vcc_lo
	v_cmp_ne_u32_e32 vcc_lo, 0, v9
	v_bfe_u32 v21, v10, 20, 11
	v_mul_f64 v[7:8], v[7:8], s[12:13]
	v_lshrrev_b32_e32 v10, 16, v10
	v_and_b32_e32 v22, 7, v12
	v_cndmask_b32_e64 v9, 0, 1, vcc_lo
	v_cmp_gt_i32_e32 vcc_lo, 31, v14
	v_lshrrev_b32_e32 v12, 2, v12
	v_cmp_eq_u32_e64 s0, 3, v22
	v_and_or_b32 v9, 0xffe, v20, v9
	v_sub_nc_u32_e32 v20, 0x3f1, v21
	v_cndmask_b32_e32 v13, 0x7c00, v13, vcc_lo
	v_cmp_eq_u32_e32 vcc_lo, 0x40f, v14
	v_add_nc_u32_e32 v21, 0xfffffc10, v21
	v_med3_i32 v14, v20, 0, 13
	v_cndmask_b32_e32 v1, v13, v1, vcc_lo
	v_cmp_lt_i32_e32 vcc_lo, 5, v22
	v_or_b32_e32 v13, 0x1000, v9
	v_and_or_b32 v1, 0x8000, v17, v1
	s_or_b32 vcc_lo, s0, vcc_lo
	v_lshrrev_b32_e32 v22, v14, v13
	v_add_co_ci_u32_e32 v12, vcc_lo, 0, v12, vcc_lo
	v_cmp_ne_u32_e32 vcc_lo, 0, v18
	v_and_or_b32 v7, 0x1ff, v8, v7
	v_lshlrev_b32_e32 v14, v14, v22
	v_bfe_u32 v25, v8, 20, 11
	v_cndmask_b32_e64 v18, 0, 1, vcc_lo
	v_cmp_gt_i32_e32 vcc_lo, 31, v15
	v_lshl_or_b32 v18, v18, 9, 0x7c00
	s_waitcnt vmcnt(0)
	v_mul_f16_sdwa v20, v24, v23 dst_sel:DWORD dst_unused:UNUSED_PAD src0_sel:WORD_1 src1_sel:DWORD
	v_mov_b32_e32 v27, v24
	v_fmac_f16_e32 v20, v24, v0
	v_mul_f16_sdwa v0, v27, v0 dst_sel:DWORD dst_unused:UNUSED_PAD src0_sel:WORD_1 src1_sel:DWORD
	v_cndmask_b32_e32 v24, 0x7c00, v12, vcc_lo
	v_cmp_ne_u32_e32 vcc_lo, v14, v13
	v_cvt_f32_f16_e32 v20, v20
	v_fma_f16 v0, v27, v23, -v0
	buffer_load_dword v27, off, s[20:23], 0 offset:12 ; 4-byte Folded Reload
	v_cndmask_b32_e64 v14, 0, 1, vcc_lo
	v_cmp_ne_u32_e32 vcc_lo, 0, v7
	v_cvt_f64_f32_e32 v[12:13], v20
	v_lshrrev_b32_e32 v20, 8, v8
	v_cvt_f32_f16_e32 v0, v0
	v_or_b32_e32 v14, v22, v14
	v_cndmask_b32_e64 v7, 0, 1, vcc_lo
	v_cmp_eq_u32_e32 vcc_lo, 0x40f, v15
	v_lshl_or_b32 v22, v21, 12, v9
	v_lshrrev_b32_e32 v8, 16, v8
	v_and_or_b32 v7, 0xffe, v20, v7
	v_sub_nc_u32_e32 v20, 0x3f1, v25
	v_cndmask_b32_e32 v18, v24, v18, vcc_lo
	v_cmp_gt_i32_e32 vcc_lo, 1, v21
	v_or_b32_e32 v24, 0x1000, v7
	v_med3_i32 v20, v20, 0, 13
	v_and_or_b32 v18, 0x8000, v19, v18
	v_cndmask_b32_e32 v22, v22, v14, vcc_lo
	v_add_co_u32 v14, vcc_lo, v3, s10
	v_lshrrev_b32_e32 v26, v20, v24
	v_add_co_ci_u32_e32 v15, vcc_lo, s7, v4, vcc_lo
	v_and_b32_e32 v17, 7, v22
	v_mul_f64 v[12:13], v[12:13], s[12:13]
	v_lshlrev_b32_e32 v19, v20, v26
	v_and_b32_e32 v20, 0xffff, v1
	v_lshrrev_b32_e32 v1, 2, v22
	v_cmp_lt_i32_e32 vcc_lo, 5, v17
	v_cmp_eq_u32_e64 s0, 3, v17
	v_cmp_ne_u32_e64 s1, v19, v24
	v_add_nc_u32_e32 v19, 0xfffffc10, v25
	v_lshl_or_b32 v18, v18, 16, v20
	v_lshrrev_b32_e32 v24, 16, v11
	s_or_b32 vcc_lo, s0, vcc_lo
	v_cndmask_b32_e64 v3, 0, 1, s1
	v_add_co_ci_u32_e32 v4, vcc_lo, 0, v1, vcc_lo
	v_cmp_ne_u32_e32 vcc_lo, 0, v9
	v_lshl_or_b32 v16, v19, 12, v7
	v_or_b32_e32 v3, v26, v3
	v_cvt_f64_f32_e32 v[0:1], v0
	global_store_dword v[14:15], v5, off
	v_cndmask_b32_e64 v9, 0, 1, vcc_lo
	v_cmp_gt_i32_e32 vcc_lo, 1, v19
	v_and_or_b32 v12, 0x1ff, v13, v12
	v_lshrrev_b32_e32 v22, 8, v13
	v_bfe_u32 v23, v13, 20, 11
	v_cndmask_b32_e32 v16, v16, v3, vcc_lo
	v_cmp_gt_i32_e32 vcc_lo, 31, v21
	v_lshl_or_b32 v9, v9, 9, 0x7c00
	v_lshrrev_b32_e32 v13, 16, v13
	v_and_b32_e32 v17, 7, v16
	v_cndmask_b32_e32 v20, 0x7c00, v4, vcc_lo
	v_cmp_ne_u32_e32 vcc_lo, 0, v12
	v_lshrrev_b32_e32 v16, 2, v16
	v_cmp_eq_u32_e64 s0, 3, v17
	v_cndmask_b32_e64 v12, 0, 1, vcc_lo
	v_add_co_u32 v3, vcc_lo, v14, s8
	v_add_co_ci_u32_e32 v4, vcc_lo, s9, v15, vcc_lo
	v_cmp_lt_i32_e32 vcc_lo, 5, v17
	v_mul_f64 v[0:1], v[0:1], s[12:13]
	v_and_or_b32 v12, 0xffe, v22, v12
	v_sub_nc_u32_e32 v22, 0x3f1, v23
	global_store_dword v[3:4], v18, off
	s_or_b32 vcc_lo, s0, vcc_lo
	v_add_co_ci_u32_e32 v16, vcc_lo, 0, v16, vcc_lo
	v_cmp_ne_u32_e32 vcc_lo, 0, v7
	v_or_b32_e32 v26, 0x1000, v12
	v_med3_i32 v17, v22, 0, 13
	v_cndmask_b32_e64 v7, 0, 1, vcc_lo
	v_cmp_gt_i32_e32 vcc_lo, 31, v19
	v_lshrrev_b32_e32 v22, v17, v26
	v_lshl_or_b32 v7, v7, 9, 0x7c00
	v_lshlrev_b32_e32 v28, v17, v22
	v_and_or_b32 v0, 0x1ff, v1, v0
	s_waitcnt vmcnt(0)
	v_mul_f16_sdwa v25, v27, v24 dst_sel:DWORD dst_unused:UNUSED_PAD src0_sel:WORD_1 src1_sel:DWORD
	v_mov_b32_e32 v29, v27
	v_fmac_f16_e32 v25, v27, v11
	v_cndmask_b32_e32 v27, 0x7c00, v16, vcc_lo
	v_cmp_eq_u32_e32 vcc_lo, 0x40f, v21
	v_bfe_u32 v21, v1, 20, 11
	v_mul_f16_sdwa v5, v29, v11 dst_sel:DWORD dst_unused:UNUSED_PAD src0_sel:WORD_1 src1_sel:DWORD
	v_cvt_f32_f16_e32 v25, v25
	v_cndmask_b32_e32 v9, v20, v9, vcc_lo
	v_cmp_eq_u32_e32 vcc_lo, 0x40f, v19
	v_lshrrev_b32_e32 v20, 8, v1
	v_cvt_f64_f32_e32 v[16:17], v25
	v_add_nc_u32_e32 v19, 0xfffffc10, v23
	v_and_or_b32 v9, 0x8000, v10, v9
	v_cndmask_b32_e32 v7, v27, v7, vcc_lo
	v_cmp_ne_u32_e32 vcc_lo, v28, v26
	v_fma_f16 v5, v29, v24, -v5
	v_lshrrev_b32_e32 v1, 16, v1
	v_and_b32_e32 v9, 0xffff, v9
	v_and_or_b32 v23, 0x8000, v8, v7
	v_cndmask_b32_e64 v10, 0, 1, vcc_lo
	v_cmp_ne_u32_e32 vcc_lo, 0, v0
	v_cvt_f32_f16_e32 v5, v5
	v_lshl_or_b32 v9, v23, 16, v9
	v_or_b32_e32 v10, v22, v10
	v_cndmask_b32_e64 v0, 0, 1, vcc_lo
	v_lshl_or_b32 v22, v19, 12, v12
	v_cmp_gt_i32_e32 vcc_lo, 1, v19
	v_and_or_b32 v0, 0xffe, v20, v0
	v_sub_nc_u32_e32 v20, 0x3f1, v21
	v_mul_f64 v[7:8], v[16:17], s[12:13]
	v_cndmask_b32_e32 v10, v22, v10, vcc_lo
	v_add_co_u32 v3, vcc_lo, v3, s10
	v_or_b32_e32 v16, 0x1000, v0
	v_med3_i32 v17, v20, 0, 13
	v_and_b32_e32 v11, 7, v10
	v_add_co_ci_u32_e32 v4, vcc_lo, s7, v4, vcc_lo
	v_lshrrev_b32_e32 v14, v17, v16
	v_cmp_lt_i32_e32 vcc_lo, 5, v11
	v_cmp_eq_u32_e64 s0, 3, v11
	global_store_dword v[3:4], v9, off
	v_lshrrev_b32_e32 v11, 2, v10
	v_lshlrev_b32_e32 v15, v17, v14
	v_cvt_f64_f32_e32 v[9:10], v5
	s_or_b32 vcc_lo, s0, vcc_lo
	v_cmp_ne_u32_e64 s1, v15, v16
	v_add_nc_u32_e32 v15, 0xfffffc10, v21
	buffer_load_dword v21, off, s[20:23], 0 offset:8 ; 4-byte Folded Reload
	v_and_or_b32 v7, 0x1ff, v8, v7
	v_lshrrev_b32_e32 v16, 16, v2
	v_cndmask_b32_e64 v5, 0, 1, s1
	v_lshrrev_b32_e32 v17, 8, v8
	v_bfe_u32 v18, v8, 20, 11
	v_cmp_ne_u32_e64 s1, 0, v7
	v_or_b32_e32 v5, v14, v5
	v_lshl_or_b32 v14, v15, 12, v0
	v_cndmask_b32_e64 v7, 0, 1, s1
	v_cmp_gt_i32_e64 s1, 1, v15
	v_and_or_b32 v7, 0xffe, v17, v7
	v_cndmask_b32_e64 v5, v14, v5, s1
	v_add_co_ci_u32_e32 v14, vcc_lo, 0, v11, vcc_lo
	v_cmp_ne_u32_e32 vcc_lo, 0, v12
	v_sub_nc_u32_e32 v17, 0x3f1, v18
	v_and_b32_e32 v11, 7, v5
	v_lshrrev_b32_e32 v5, 2, v5
	v_cmp_gt_i32_e64 s1, 31, v19
	v_cndmask_b32_e64 v22, 0, 1, vcc_lo
	v_med3_i32 v17, v17, 0, 13
	v_cmp_lt_i32_e32 vcc_lo, 5, v11
	v_cmp_eq_u32_e64 s0, 3, v11
	v_mul_f64 v[9:10], v[9:10], s[12:13]
	v_cndmask_b32_e64 v14, 0x7c00, v14, s1
	v_add_nc_u32_e32 v18, 0xfffffc10, v18
	s_or_b32 vcc_lo, s0, vcc_lo
	v_add_co_ci_u32_e32 v5, vcc_lo, 0, v5, vcc_lo
	v_cmp_eq_u32_e32 vcc_lo, 0x40f, v19
	v_lshl_or_b32 v19, v18, 12, v7
	v_and_or_b32 v9, 0x1ff, v10, v9
	s_waitcnt vmcnt(0)
	v_mul_f16_sdwa v20, v21, v16 dst_sel:DWORD dst_unused:UNUSED_PAD src0_sel:WORD_1 src1_sel:DWORD
	v_mov_b32_e32 v24, v21
	v_fmac_f16_e32 v20, v21, v2
	v_or_b32_e32 v21, 0x1000, v7
	v_mul_f16_sdwa v2, v24, v2 dst_sel:DWORD dst_unused:UNUSED_PAD src0_sel:WORD_1 src1_sel:DWORD
	v_cvt_f32_f16_e32 v20, v20
	v_lshrrev_b32_e32 v23, v17, v21
	v_cvt_f64_f32_e32 v[11:12], v20
	v_lshl_or_b32 v20, v22, 9, 0x7c00
	v_lshlrev_b32_e32 v17, v17, v23
	v_cndmask_b32_e32 v14, v14, v20, vcc_lo
	v_cmp_ne_u32_e32 vcc_lo, 0, v0
	v_and_or_b32 v13, 0x8000, v13, v14
	v_cndmask_b32_e64 v0, 0, 1, vcc_lo
	v_cmp_ne_u32_e32 vcc_lo, v17, v21
	v_lshl_or_b32 v0, v0, 9, 0x7c00
	v_cndmask_b32_e64 v17, 0, 1, vcc_lo
	v_cmp_gt_i32_e32 vcc_lo, 31, v15
	v_mul_f64 v[11:12], v[11:12], s[12:13]
	v_or_b32_e32 v17, v23, v17
	v_cndmask_b32_e32 v5, 0x7c00, v5, vcc_lo
	v_cmp_gt_i32_e32 vcc_lo, 1, v18
	v_lshrrev_b32_e32 v23, 16, v6
	v_cndmask_b32_e32 v17, v19, v17, vcc_lo
	v_cmp_ne_u32_e32 vcc_lo, 0, v9
	v_lshrrev_b32_e32 v19, 8, v10
	v_cndmask_b32_e64 v9, 0, 1, vcc_lo
	v_cmp_eq_u32_e32 vcc_lo, 0x40f, v15
	v_and_b32_e32 v15, 7, v17
	v_and_or_b32 v9, 0xffe, v19, v9
	v_cndmask_b32_e32 v0, v5, v0, vcc_lo
	v_bfe_u32 v5, v10, 20, 11
	v_cmp_lt_i32_e32 vcc_lo, 5, v15
	v_cmp_eq_u32_e64 s0, 3, v15
	v_and_b32_e32 v15, 0xffff, v13
	v_and_or_b32 v20, 0x8000, v1, v0
	v_fma_f16 v0, v24, v16, -v2
	v_sub_nc_u32_e32 v19, 0x3f1, v5
	v_lshrrev_b32_e32 v13, 2, v17
	v_or_b32_e32 v2, 0x1000, v9
	v_and_or_b32 v11, 0x1ff, v12, v11
	v_cvt_f32_f16_e32 v0, v0
	v_med3_i32 v14, v19, 0, 13
	s_or_b32 vcc_lo, s0, vcc_lo
	v_lshrrev_b32_e32 v17, 8, v12
	v_add_co_ci_u32_e32 v13, vcc_lo, 0, v13, vcc_lo
	v_cvt_f64_f32_e32 v[0:1], v0
	v_lshrrev_b32_e32 v16, v14, v2
	v_cmp_ne_u32_e32 vcc_lo, 0, v11
	v_bfe_u32 v19, v12, 20, 11
	v_add_nc_u32_e32 v5, 0xfffffc10, v5
	v_lshlrev_b32_e32 v14, v14, v16
	v_cndmask_b32_e64 v11, 0, 1, vcc_lo
	v_cmp_gt_i32_e32 vcc_lo, 31, v18
	v_and_or_b32 v11, 0xffe, v17, v11
	v_cndmask_b32_e32 v21, 0x7c00, v13, vcc_lo
	v_sub_nc_u32_e32 v13, 0x3f1, v19
	v_cmp_ne_u32_e32 vcc_lo, v14, v2
	v_or_b32_e32 v17, 0x1000, v11
	v_med3_i32 v22, v13, 0, 13
	v_cndmask_b32_e64 v2, 0, 1, vcc_lo
	v_cmp_ne_u32_e32 vcc_lo, 0, v7
	v_mul_f64 v[13:14], v[0:1], s[12:13]
	v_lshrrev_b32_e32 v0, v22, v17
	v_or_b32_e32 v2, v16, v2
	v_cndmask_b32_e64 v7, 0, 1, vcc_lo
	v_lshl_or_b32 v16, v5, 12, v9
	v_cmp_gt_i32_e32 vcc_lo, 1, v5
	v_lshl_or_b32 v7, v7, 9, 0x7c00
	v_cndmask_b32_e32 v1, v16, v2, vcc_lo
	v_lshl_or_b32 v2, v20, 16, v15
	v_lshlrev_b32_e32 v15, v22, v0
	buffer_load_dword v22, off, s[20:23], 0 offset:4 ; 4-byte Folded Reload
	v_cmp_eq_u32_e32 vcc_lo, 0x40f, v18
	v_and_b32_e32 v20, 7, v1
	v_lshrrev_b32_e32 v1, 2, v1
	v_cmp_ne_u32_e64 s0, v15, v17
	v_add_nc_u32_e32 v15, 0xfffffc10, v19
	v_cndmask_b32_e32 v18, v21, v7, vcc_lo
	v_cmp_lt_i32_e32 vcc_lo, 5, v20
	v_lshrrev_b32_e32 v21, 16, v8
	v_cndmask_b32_e64 v7, 0, 1, s0
	v_cmp_eq_u32_e64 s0, 3, v20
	v_and_or_b32 v13, 0x1ff, v14, v13
	v_lshrrev_b32_e32 v17, 8, v14
	v_bfe_u32 v20, v14, 20, 11
	v_or_b32_e32 v0, v0, v7
	s_or_b32 vcc_lo, s0, vcc_lo
	v_lshrrev_b32_e32 v14, 16, v14
	v_add_co_ci_u32_e32 v1, vcc_lo, 0, v1, vcc_lo
	v_cmp_ne_u32_e32 vcc_lo, 0, v9
	v_cndmask_b32_e64 v9, 0, 1, vcc_lo
	v_cmp_gt_i32_e32 vcc_lo, 1, v15
	v_lshl_or_b32 v9, v9, 9, 0x7c00
	s_waitcnt vmcnt(0)
	v_mul_f16_sdwa v16, v22, v23 dst_sel:DWORD dst_unused:UNUSED_PAD src0_sel:WORD_1 src1_sel:DWORD
	v_mov_b32_e32 v24, v22
	v_fmac_f16_e32 v16, v22, v6
	v_mul_f16_sdwa v6, v24, v6 dst_sel:DWORD dst_unused:UNUSED_PAD src0_sel:WORD_1 src1_sel:DWORD
	v_cvt_f32_f16_e32 v8, v16
	v_fma_f16 v6, v24, v23, -v6
	buffer_load_dword v23, off, s[20:23], 0 ; 4-byte Folded Reload
	v_lshl_or_b32 v16, v15, 12, v11
	v_cvt_f64_f32_e32 v[7:8], v8
	v_cndmask_b32_e32 v16, v16, v0, vcc_lo
	v_cmp_ne_u32_e32 vcc_lo, 0, v13
	v_and_b32_e32 v22, 7, v16
	v_cndmask_b32_e64 v13, 0, 1, vcc_lo
	v_cmp_gt_i32_e32 vcc_lo, 31, v5
	v_lshrrev_b32_e32 v16, 2, v16
	v_cmp_eq_u32_e64 s0, 3, v22
	v_and_or_b32 v13, 0xffe, v17, v13
	v_cndmask_b32_e32 v19, 0x7c00, v1, vcc_lo
	v_add_co_u32 v0, vcc_lo, v3, s10
	v_add_co_ci_u32_e32 v1, vcc_lo, s7, v4, vcc_lo
	v_sub_nc_u32_e32 v17, 0x3f1, v20
	v_cmp_eq_u32_e32 vcc_lo, 0x40f, v5
	v_mul_f64 v[3:4], v[7:8], s[12:13]
	v_lshrrev_b32_e32 v7, 16, v10
	v_or_b32_e32 v8, 0x1000, v13
	v_and_or_b32 v10, 0x8000, v21, v18
	v_cndmask_b32_e32 v5, v19, v9, vcc_lo
	v_med3_i32 v9, v17, 0, 13
	v_cmp_lt_i32_e32 vcc_lo, 5, v22
	ds_read_b32 v17, v132 offset:9408
	v_and_b32_e32 v10, 0xffff, v10
	v_and_or_b32 v5, 0x8000, v7, v5
	v_lshrrev_b32_e32 v7, v9, v8
	s_or_b32 vcc_lo, s0, vcc_lo
	v_add_nc_u32_e32 v19, 0xfffffc10, v20
	v_add_co_ci_u32_e32 v16, vcc_lo, 0, v16, vcc_lo
	v_lshlrev_b32_e32 v9, v9, v7
	v_cmp_ne_u32_e32 vcc_lo, 0, v11
	v_lshl_or_b32 v18, v5, 16, v10
	v_cvt_f32_f16_e32 v5, v6
	v_cndmask_b32_e64 v11, 0, 1, vcc_lo
	v_cmp_ne_u32_e32 vcc_lo, v9, v8
	v_and_or_b32 v3, 0x1ff, v4, v3
	v_bfe_u32 v20, v4, 20, 11
	v_cvt_f64_f32_e32 v[5:6], v5
	v_cndmask_b32_e64 v8, 0, 1, vcc_lo
	v_cmp_gt_i32_e32 vcc_lo, 31, v15
	s_waitcnt lgkmcnt(0)
	v_lshrrev_b32_e32 v10, 16, v17
	v_or_b32_e32 v7, v7, v8
	v_cndmask_b32_e32 v9, 0x7c00, v16, vcc_lo
	v_cmp_ne_u32_e32 vcc_lo, 0, v3
	v_lshrrev_b32_e32 v16, 8, v4
	v_lshl_or_b32 v8, v19, 12, v13
	v_lshrrev_b32_e32 v4, 16, v4
	v_cndmask_b32_e64 v3, 0, 1, vcc_lo
	v_cmp_gt_i32_e32 vcc_lo, 1, v19
	v_and_or_b32 v3, 0xffe, v16, v3
	v_sub_nc_u32_e32 v16, 0x3f1, v20
	v_cndmask_b32_e32 v22, v8, v7, vcc_lo
	v_lshl_or_b32 v7, v11, 9, 0x7c00
	v_cmp_eq_u32_e32 vcc_lo, 0x40f, v15
	v_or_b32_e32 v11, 0x1000, v3
	v_med3_i32 v16, v16, 0, 13
	v_mul_f64 v[5:6], v[5:6], s[12:13]
	v_cndmask_b32_e32 v15, v9, v7, vcc_lo
	v_lshrrev_b32_e32 v9, v16, v11
	v_lshlrev_b32_e32 v16, v16, v9
	v_and_or_b32 v5, 0x1ff, v6, v5
	s_waitcnt vmcnt(0)
	v_mul_f16_sdwa v21, v23, v10 dst_sel:DWORD dst_unused:UNUSED_PAD src0_sel:WORD_1 src1_sel:DWORD
	v_mov_b32_e32 v24, v23
	v_fmac_f16_e32 v21, v23, v17
	v_and_b32_e32 v23, 7, v22
	v_mul_f16_sdwa v17, v24, v17 dst_sel:DWORD dst_unused:UNUSED_PAD src0_sel:WORD_1 src1_sel:DWORD
	v_cvt_f32_f16_e32 v8, v21
	v_cmp_lt_i32_e32 vcc_lo, 5, v23
	v_cmp_eq_u32_e64 s0, 3, v23
	v_lshrrev_b32_e32 v21, 16, v12
	v_lshrrev_b32_e32 v12, 2, v22
	v_cvt_f64_f32_e32 v[7:8], v8
	v_fma_f16 v10, v24, v10, -v17
	s_or_b32 vcc_lo, s0, vcc_lo
	v_and_or_b32 v15, 0x8000, v21, v15
	v_add_co_ci_u32_e32 v12, vcc_lo, 0, v12, vcc_lo
	v_cmp_ne_u32_e32 vcc_lo, v16, v11
	v_add_nc_u32_e32 v16, 0xfffffc10, v20
	v_cvt_f32_f16_e32 v10, v10
	v_and_b32_e32 v15, 0xffff, v15
	v_cndmask_b32_e64 v11, 0, 1, vcc_lo
	v_cmp_ne_u32_e32 vcc_lo, 0, v13
	v_lshl_or_b32 v20, v16, 12, v3
	v_or_b32_e32 v17, v9, v11
	v_cndmask_b32_e64 v13, 0, 1, vcc_lo
	v_cmp_gt_i32_e32 vcc_lo, 31, v19
	v_cvt_f64_f32_e32 v[9:10], v10
	v_mul_f64 v[7:8], v[7:8], s[12:13]
	v_cndmask_b32_e32 v22, 0x7c00, v12, vcc_lo
	v_add_co_u32 v11, vcc_lo, v0, s10
	v_add_co_ci_u32_e32 v12, vcc_lo, s7, v1, vcc_lo
	v_cmp_gt_i32_e32 vcc_lo, 1, v16
	v_lshl_or_b32 v13, v13, 9, 0x7c00
	v_cndmask_b32_e32 v17, v20, v17, vcc_lo
	v_cmp_eq_u32_e32 vcc_lo, 0x40f, v19
	v_lshrrev_b32_e32 v19, 8, v6
	v_bfe_u32 v20, v6, 20, 11
	v_lshrrev_b32_e32 v6, 16, v6
	v_cndmask_b32_e32 v13, v22, v13, vcc_lo
	v_cmp_ne_u32_e32 vcc_lo, 0, v5
	v_and_b32_e32 v22, 7, v17
	v_mul_f64 v[9:10], v[9:10], s[12:13]
	v_lshrrev_b32_e32 v17, 2, v17
	v_and_or_b32 v13, 0x8000, v14, v13
	v_cndmask_b32_e64 v5, 0, 1, vcc_lo
	v_cmp_lt_i32_e32 vcc_lo, 5, v22
	v_cmp_eq_u32_e64 s0, 3, v22
	v_and_or_b32 v7, 0x1ff, v8, v7
	v_lshrrev_b32_e32 v22, 8, v8
	v_and_or_b32 v5, 0xffe, v19, v5
	v_sub_nc_u32_e32 v19, 0x3f1, v20
	s_or_b32 vcc_lo, s0, vcc_lo
	v_bfe_u32 v23, v8, 20, 11
	v_add_co_ci_u32_e32 v17, vcc_lo, 0, v17, vcc_lo
	v_or_b32_e32 v14, 0x1000, v5
	v_med3_i32 v19, v19, 0, 13
	v_cmp_ne_u32_e32 vcc_lo, 0, v7
	v_lshrrev_b32_e32 v8, 16, v8
	v_lshl_or_b32 v13, v13, 16, v15
	v_lshrrev_b32_e32 v21, v19, v14
	v_cndmask_b32_e64 v7, 0, 1, vcc_lo
	v_cmp_ne_u32_e32 vcc_lo, 0, v3
	v_and_or_b32 v9, 0x1ff, v10, v9
	v_lshrrev_b32_e32 v24, 8, v10
	v_lshlrev_b32_e32 v19, v19, v21
	v_and_or_b32 v7, 0xffe, v22, v7
	v_cndmask_b32_e64 v3, 0, 1, vcc_lo
	v_sub_nc_u32_e32 v22, 0x3f1, v23
	v_bfe_u32 v25, v10, 20, 11
	v_cmp_ne_u32_e32 vcc_lo, v19, v14
	v_add_nc_u32_e32 v19, 0xfffffc10, v20
	v_or_b32_e32 v20, 0x1000, v7
	v_med3_i32 v22, v22, 0, 13
	v_lshl_or_b32 v3, v3, 9, 0x7c00
	v_cndmask_b32_e64 v14, 0, 1, vcc_lo
	v_cmp_gt_i32_e32 vcc_lo, 31, v16
	v_lshrrev_b32_e32 v26, v22, v20
	v_or_b32_e32 v14, v21, v14
	v_cndmask_b32_e32 v17, 0x7c00, v17, vcc_lo
	v_cmp_ne_u32_e32 vcc_lo, 0, v9
	v_lshl_or_b32 v21, v19, 12, v5
	v_cndmask_b32_e64 v9, 0, 1, vcc_lo
	v_cmp_gt_i32_e32 vcc_lo, 1, v19
	v_and_or_b32 v9, 0xffe, v24, v9
	v_sub_nc_u32_e32 v24, 0x3f1, v25
	v_cndmask_b32_e32 v14, v21, v14, vcc_lo
	v_lshlrev_b32_e32 v21, v22, v26
	v_cmp_eq_u32_e32 vcc_lo, 0x40f, v16
	v_or_b32_e32 v22, 0x1000, v9
	v_med3_i32 v24, v24, 0, 13
	v_and_b32_e32 v27, 7, v14
	v_lshrrev_b32_e32 v14, 2, v14
	v_cndmask_b32_e32 v3, v17, v3, vcc_lo
	v_cmp_ne_u32_e32 vcc_lo, v21, v20
	v_add_nc_u32_e32 v17, 0xfffffc10, v23
	v_lshrrev_b32_e32 v20, v24, v22
	v_cmp_eq_u32_e64 s0, 3, v27
	v_and_or_b32 v3, 0x8000, v4, v3
	v_cndmask_b32_e64 v16, 0, 1, vcc_lo
	v_lshl_or_b32 v21, v17, 12, v7
	v_lshlrev_b32_e32 v23, v24, v20
	v_cmp_gt_i32_e64 s1, 1, v17
	v_cmp_lt_i32_e32 vcc_lo, 5, v27
	v_or_b32_e32 v16, v26, v16
	s_or_b32 vcc_lo, s0, vcc_lo
	v_cndmask_b32_e64 v16, v21, v16, s1
	v_cmp_ne_u32_e64 s1, v23, v22
	v_add_nc_u32_e32 v22, 0xfffffc10, v25
	v_add_co_ci_u32_e32 v14, vcc_lo, 0, v14, vcc_lo
	v_and_b32_e32 v23, 7, v16
	v_cndmask_b32_e64 v21, 0, 1, s1
	v_cmp_ne_u32_e32 vcc_lo, 0, v5
	v_cmp_gt_i32_e64 s0, 1, v22
	v_lshrrev_b32_e32 v16, 2, v16
	v_cmp_gt_i32_e64 s1, 31, v19
	v_or_b32_e32 v20, v20, v21
	v_lshl_or_b32 v21, v22, 12, v9
	v_cndmask_b32_e64 v5, 0, 1, vcc_lo
	v_cmp_lt_i32_e32 vcc_lo, 5, v23
	v_cndmask_b32_e64 v14, 0x7c00, v14, s1
	v_cmp_eq_u32_e64 s1, 0x40f, v19
	v_cndmask_b32_e64 v4, v21, v20, s0
	v_cmp_eq_u32_e64 s0, 3, v23
	v_lshl_or_b32 v5, v5, 9, 0x7c00
	v_and_b32_e32 v20, 7, v4
	s_or_b32 vcc_lo, s0, vcc_lo
	v_lshrrev_b32_e32 v4, 2, v4
	v_add_co_ci_u32_e32 v16, vcc_lo, 0, v16, vcc_lo
	v_cmp_ne_u32_e32 vcc_lo, 0, v7
	v_cmp_eq_u32_e64 s0, 3, v20
	v_cndmask_b32_e64 v5, v14, v5, s1
	v_cmp_gt_i32_e64 s1, 31, v17
	v_cndmask_b32_e64 v7, 0, 1, vcc_lo
	v_cmp_lt_i32_e32 vcc_lo, 5, v20
	v_and_or_b32 v5, 0x8000, v6, v5
	v_cndmask_b32_e64 v14, 0x7c00, v16, s1
	v_and_b32_e32 v6, 0xffff, v3
	v_lshl_or_b32 v7, v7, 9, 0x7c00
	s_or_b32 vcc_lo, s0, vcc_lo
	v_add_co_ci_u32_e32 v4, vcc_lo, 0, v4, vcc_lo
	v_cmp_ne_u32_e32 vcc_lo, 0, v9
	v_cndmask_b32_e64 v9, 0, 1, vcc_lo
	v_cmp_eq_u32_e32 vcc_lo, 0x40f, v17
	v_lshl_or_b32 v9, v9, 9, 0x7c00
	v_cndmask_b32_e32 v7, v14, v7, vcc_lo
	v_cmp_gt_i32_e32 vcc_lo, 31, v22
	v_and_or_b32 v7, 0x8000, v8, v7
	v_cndmask_b32_e32 v4, 0x7c00, v4, vcc_lo
	v_cmp_eq_u32_e32 vcc_lo, 0x40f, v22
	v_and_b32_e32 v7, 0xffff, v7
	v_cndmask_b32_e32 v8, v4, v9, vcc_lo
	v_lshrrev_b32_e32 v9, 16, v10
	v_add_co_u32 v3, vcc_lo, v11, s10
	v_add_co_ci_u32_e32 v4, vcc_lo, s7, v12, vcc_lo
	v_lshl_or_b32 v10, v5, 16, v6
	v_and_or_b32 v8, 0x8000, v9, v8
	v_add_co_u32 v5, vcc_lo, v3, s10
	v_add_co_ci_u32_e32 v6, vcc_lo, s7, v4, vcc_lo
	v_lshl_or_b32 v9, v8, 16, v7
	v_add_co_u32 v7, vcc_lo, v5, s10
	v_add_co_ci_u32_e32 v8, vcc_lo, s7, v6, vcc_lo
	global_store_dword v[0:1], v2, off
	global_store_dword v[11:12], v18, off
	;; [unrolled: 1-line block ×5, first 2 shown]
.LBB0_2:
	s_endpgm
	.section	.rodata,"a",@progbits
	.p2align	6, 0x0
	.amdhsa_kernel bluestein_single_back_len2401_dim1_half_op_CI_CI
		.amdhsa_group_segment_fixed_size 9604
		.amdhsa_private_segment_fixed_size 232
		.amdhsa_kernarg_size 104
		.amdhsa_user_sgpr_count 6
		.amdhsa_user_sgpr_private_segment_buffer 1
		.amdhsa_user_sgpr_dispatch_ptr 0
		.amdhsa_user_sgpr_queue_ptr 0
		.amdhsa_user_sgpr_kernarg_segment_ptr 1
		.amdhsa_user_sgpr_dispatch_id 0
		.amdhsa_user_sgpr_flat_scratch_init 0
		.amdhsa_user_sgpr_private_segment_size 0
		.amdhsa_wavefront_size32 1
		.amdhsa_uses_dynamic_stack 0
		.amdhsa_system_sgpr_private_segment_wavefront_offset 1
		.amdhsa_system_sgpr_workgroup_id_x 1
		.amdhsa_system_sgpr_workgroup_id_y 0
		.amdhsa_system_sgpr_workgroup_id_z 0
		.amdhsa_system_sgpr_workgroup_info 0
		.amdhsa_system_vgpr_workitem_id 0
		.amdhsa_next_free_vgpr 256
		.amdhsa_next_free_sgpr 24
		.amdhsa_reserve_vcc 1
		.amdhsa_reserve_flat_scratch 0
		.amdhsa_float_round_mode_32 0
		.amdhsa_float_round_mode_16_64 0
		.amdhsa_float_denorm_mode_32 3
		.amdhsa_float_denorm_mode_16_64 3
		.amdhsa_dx10_clamp 1
		.amdhsa_ieee_mode 1
		.amdhsa_fp16_overflow 0
		.amdhsa_workgroup_processor_mode 1
		.amdhsa_memory_ordered 1
		.amdhsa_forward_progress 0
		.amdhsa_shared_vgpr_count 0
		.amdhsa_exception_fp_ieee_invalid_op 0
		.amdhsa_exception_fp_denorm_src 0
		.amdhsa_exception_fp_ieee_div_zero 0
		.amdhsa_exception_fp_ieee_overflow 0
		.amdhsa_exception_fp_ieee_underflow 0
		.amdhsa_exception_fp_ieee_inexact 0
		.amdhsa_exception_int_div_zero 0
	.end_amdhsa_kernel
	.text
.Lfunc_end0:
	.size	bluestein_single_back_len2401_dim1_half_op_CI_CI, .Lfunc_end0-bluestein_single_back_len2401_dim1_half_op_CI_CI
                                        ; -- End function
	.section	.AMDGPU.csdata,"",@progbits
; Kernel info:
; codeLenInByte = 80032
; NumSgprs: 26
; NumVgprs: 256
; ScratchSize: 232
; MemoryBound: 0
; FloatMode: 240
; IeeeMode: 1
; LDSByteSize: 9604 bytes/workgroup (compile time only)
; SGPRBlocks: 3
; VGPRBlocks: 31
; NumSGPRsForWavesPerEU: 26
; NumVGPRsForWavesPerEU: 256
; Occupancy: 4
; WaveLimiterHint : 1
; COMPUTE_PGM_RSRC2:SCRATCH_EN: 1
; COMPUTE_PGM_RSRC2:USER_SGPR: 6
; COMPUTE_PGM_RSRC2:TRAP_HANDLER: 0
; COMPUTE_PGM_RSRC2:TGID_X_EN: 1
; COMPUTE_PGM_RSRC2:TGID_Y_EN: 0
; COMPUTE_PGM_RSRC2:TGID_Z_EN: 0
; COMPUTE_PGM_RSRC2:TIDIG_COMP_CNT: 0
	.text
	.p2alignl 6, 3214868480
	.fill 48, 4, 3214868480
	.type	__hip_cuid_dfcd75adbffa44ec,@object ; @__hip_cuid_dfcd75adbffa44ec
	.section	.bss,"aw",@nobits
	.globl	__hip_cuid_dfcd75adbffa44ec
__hip_cuid_dfcd75adbffa44ec:
	.byte	0                               ; 0x0
	.size	__hip_cuid_dfcd75adbffa44ec, 1

	.ident	"AMD clang version 19.0.0git (https://github.com/RadeonOpenCompute/llvm-project roc-6.4.0 25133 c7fe45cf4b819c5991fe208aaa96edf142730f1d)"
	.section	".note.GNU-stack","",@progbits
	.addrsig
	.addrsig_sym __hip_cuid_dfcd75adbffa44ec
	.amdgpu_metadata
---
amdhsa.kernels:
  - .args:
      - .actual_access:  read_only
        .address_space:  global
        .offset:         0
        .size:           8
        .value_kind:     global_buffer
      - .actual_access:  read_only
        .address_space:  global
        .offset:         8
        .size:           8
        .value_kind:     global_buffer
      - .actual_access:  read_only
        .address_space:  global
        .offset:         16
        .size:           8
        .value_kind:     global_buffer
      - .actual_access:  read_only
        .address_space:  global
        .offset:         24
        .size:           8
        .value_kind:     global_buffer
      - .actual_access:  read_only
        .address_space:  global
        .offset:         32
        .size:           8
        .value_kind:     global_buffer
      - .offset:         40
        .size:           8
        .value_kind:     by_value
      - .address_space:  global
        .offset:         48
        .size:           8
        .value_kind:     global_buffer
      - .address_space:  global
        .offset:         56
        .size:           8
        .value_kind:     global_buffer
      - .address_space:  global
        .offset:         64
        .size:           8
        .value_kind:     global_buffer
      - .address_space:  global
        .offset:         72
        .size:           8
        .value_kind:     global_buffer
      - .offset:         80
        .size:           4
        .value_kind:     by_value
      - .address_space:  global
        .offset:         88
        .size:           8
        .value_kind:     global_buffer
      - .address_space:  global
        .offset:         96
        .size:           8
        .value_kind:     global_buffer
    .group_segment_fixed_size: 9604
    .kernarg_segment_align: 8
    .kernarg_segment_size: 104
    .language:       OpenCL C
    .language_version:
      - 2
      - 0
    .max_flat_workgroup_size: 49
    .name:           bluestein_single_back_len2401_dim1_half_op_CI_CI
    .private_segment_fixed_size: 232
    .sgpr_count:     26
    .sgpr_spill_count: 0
    .symbol:         bluestein_single_back_len2401_dim1_half_op_CI_CI.kd
    .uniform_work_group_size: 1
    .uses_dynamic_stack: false
    .vgpr_count:     256
    .vgpr_spill_count: 57
    .wavefront_size: 32
    .workgroup_processor_mode: 1
amdhsa.target:   amdgcn-amd-amdhsa--gfx1030
amdhsa.version:
  - 1
  - 2
...

	.end_amdgpu_metadata
